;; amdgpu-corpus repo=ROCm/rocFFT kind=compiled arch=gfx1201 opt=O3
	.text
	.amdgcn_target "amdgcn-amd-amdhsa--gfx1201"
	.amdhsa_code_object_version 6
	.protected	fft_rtc_fwd_len272_factors_16_17_wgs_119_tpt_17_halfLds_half_op_CI_CI_sbrr_dirReg ; -- Begin function fft_rtc_fwd_len272_factors_16_17_wgs_119_tpt_17_halfLds_half_op_CI_CI_sbrr_dirReg
	.globl	fft_rtc_fwd_len272_factors_16_17_wgs_119_tpt_17_halfLds_half_op_CI_CI_sbrr_dirReg
	.p2align	8
	.type	fft_rtc_fwd_len272_factors_16_17_wgs_119_tpt_17_halfLds_half_op_CI_CI_sbrr_dirReg,@function
fft_rtc_fwd_len272_factors_16_17_wgs_119_tpt_17_halfLds_half_op_CI_CI_sbrr_dirReg: ; @fft_rtc_fwd_len272_factors_16_17_wgs_119_tpt_17_halfLds_half_op_CI_CI_sbrr_dirReg
; %bb.0:
	s_clause 0x1
	s_load_b128 s[12:15], s[0:1], 0x18
	s_load_b128 s[8:11], s[0:1], 0x0
	v_mul_u32_u24_e32 v1, 0xf10, v0
	v_mov_b32_e32 v9, 0
	v_mov_b32_e32 v7, 0
	v_mov_b32_e32 v8, 0
	s_load_b128 s[4:7], s[0:1], 0x58
	s_wait_kmcnt 0x0
	s_load_b64 s[18:19], s[12:13], 0x0
	s_load_b64 s[16:17], s[14:15], 0x0
	v_lshrrev_b32_e32 v1, 16, v1
	v_cmp_lt_u64_e64 s2, s[10:11], 2
	s_delay_alu instid0(VALU_DEP_2) | instskip(SKIP_2) | instid1(VALU_DEP_4)
	v_mad_co_u64_u32 v[5:6], null, ttmp9, 7, v[1:2]
	v_dual_mov_b32 v6, v9 :: v_dual_mov_b32 v1, v7
	v_mov_b32_e32 v2, v8
	s_and_b32 vcc_lo, exec_lo, s2
	s_delay_alu instid0(VALU_DEP_2)
	v_dual_mov_b32 v3, v5 :: v_dual_mov_b32 v4, v6
	s_cbranch_vccnz .LBB0_8
; %bb.1:
	s_load_b64 s[2:3], s[0:1], 0x10
	v_dual_mov_b32 v7, 0 :: v_dual_mov_b32 v12, v6
	v_dual_mov_b32 v8, 0 :: v_dual_mov_b32 v11, v5
	s_delay_alu instid0(VALU_DEP_2) | instskip(SKIP_2) | instid1(VALU_DEP_2)
	v_mov_b32_e32 v1, v7
	s_add_nc_u64 s[20:21], s[14:15], 8
	s_add_nc_u64 s[22:23], s[12:13], 8
	v_mov_b32_e32 v2, v8
	s_mov_b64 s[24:25], 1
	s_wait_kmcnt 0x0
	s_add_nc_u64 s[26:27], s[2:3], 8
	s_mov_b32 s3, 0
.LBB0_2:                                ; =>This Inner Loop Header: Depth=1
	s_load_b64 s[28:29], s[26:27], 0x0
                                        ; implicit-def: $vgpr3_vgpr4
	s_mov_b32 s2, exec_lo
	s_wait_kmcnt 0x0
	v_or_b32_e32 v10, s29, v12
	s_delay_alu instid0(VALU_DEP_1)
	v_cmpx_ne_u64_e32 0, v[9:10]
	s_wait_alu 0xfffe
	s_xor_b32 s30, exec_lo, s2
	s_cbranch_execz .LBB0_4
; %bb.3:                                ;   in Loop: Header=BB0_2 Depth=1
	s_cvt_f32_u32 s2, s28
	s_cvt_f32_u32 s31, s29
	s_sub_nc_u64 s[36:37], 0, s[28:29]
	s_wait_alu 0xfffe
	s_delay_alu instid0(SALU_CYCLE_1) | instskip(SKIP_1) | instid1(SALU_CYCLE_2)
	s_fmamk_f32 s2, s31, 0x4f800000, s2
	s_wait_alu 0xfffe
	v_s_rcp_f32 s2, s2
	s_delay_alu instid0(TRANS32_DEP_1) | instskip(SKIP_1) | instid1(SALU_CYCLE_2)
	s_mul_f32 s2, s2, 0x5f7ffffc
	s_wait_alu 0xfffe
	s_mul_f32 s31, s2, 0x2f800000
	s_wait_alu 0xfffe
	s_delay_alu instid0(SALU_CYCLE_2) | instskip(SKIP_1) | instid1(SALU_CYCLE_2)
	s_trunc_f32 s31, s31
	s_wait_alu 0xfffe
	s_fmamk_f32 s2, s31, 0xcf800000, s2
	s_cvt_u32_f32 s35, s31
	s_wait_alu 0xfffe
	s_delay_alu instid0(SALU_CYCLE_1) | instskip(SKIP_1) | instid1(SALU_CYCLE_2)
	s_cvt_u32_f32 s34, s2
	s_wait_alu 0xfffe
	s_mul_u64 s[38:39], s[36:37], s[34:35]
	s_wait_alu 0xfffe
	s_mul_hi_u32 s41, s34, s39
	s_mul_i32 s40, s34, s39
	s_mul_hi_u32 s2, s34, s38
	s_mul_i32 s33, s35, s38
	s_wait_alu 0xfffe
	s_add_nc_u64 s[40:41], s[2:3], s[40:41]
	s_mul_hi_u32 s31, s35, s38
	s_mul_hi_u32 s42, s35, s39
	s_add_co_u32 s2, s40, s33
	s_wait_alu 0xfffe
	s_add_co_ci_u32 s2, s41, s31
	s_mul_i32 s38, s35, s39
	s_add_co_ci_u32 s39, s42, 0
	s_wait_alu 0xfffe
	s_add_nc_u64 s[38:39], s[2:3], s[38:39]
	s_wait_alu 0xfffe
	v_add_co_u32 v3, s2, s34, s38
	s_delay_alu instid0(VALU_DEP_1) | instskip(SKIP_1) | instid1(VALU_DEP_1)
	s_cmp_lg_u32 s2, 0
	s_add_co_ci_u32 s35, s35, s39
	v_readfirstlane_b32 s34, v3
	s_wait_alu 0xfffe
	s_delay_alu instid0(VALU_DEP_1)
	s_mul_u64 s[36:37], s[36:37], s[34:35]
	s_wait_alu 0xfffe
	s_mul_hi_u32 s39, s34, s37
	s_mul_i32 s38, s34, s37
	s_mul_hi_u32 s2, s34, s36
	s_mul_i32 s33, s35, s36
	s_wait_alu 0xfffe
	s_add_nc_u64 s[38:39], s[2:3], s[38:39]
	s_mul_hi_u32 s31, s35, s36
	s_mul_hi_u32 s34, s35, s37
	s_wait_alu 0xfffe
	s_add_co_u32 s2, s38, s33
	s_add_co_ci_u32 s2, s39, s31
	s_mul_i32 s36, s35, s37
	s_add_co_ci_u32 s37, s34, 0
	s_wait_alu 0xfffe
	s_add_nc_u64 s[36:37], s[2:3], s[36:37]
	s_wait_alu 0xfffe
	v_add_co_u32 v6, s2, v3, s36
	s_delay_alu instid0(VALU_DEP_1) | instskip(SKIP_1) | instid1(VALU_DEP_1)
	s_cmp_lg_u32 s2, 0
	s_add_co_ci_u32 s2, s35, s37
	v_mul_hi_u32 v10, v11, v6
	s_wait_alu 0xfffe
	v_mad_co_u64_u32 v[3:4], null, v11, s2, 0
	v_mad_co_u64_u32 v[13:14], null, v12, v6, 0
	;; [unrolled: 1-line block ×3, first 2 shown]
	s_delay_alu instid0(VALU_DEP_3) | instskip(SKIP_1) | instid1(VALU_DEP_4)
	v_add_co_u32 v3, vcc_lo, v10, v3
	s_wait_alu 0xfffd
	v_add_co_ci_u32_e32 v4, vcc_lo, 0, v4, vcc_lo
	s_delay_alu instid0(VALU_DEP_2) | instskip(SKIP_1) | instid1(VALU_DEP_2)
	v_add_co_u32 v3, vcc_lo, v3, v13
	s_wait_alu 0xfffd
	v_add_co_ci_u32_e32 v3, vcc_lo, v4, v14, vcc_lo
	s_wait_alu 0xfffd
	v_add_co_ci_u32_e32 v4, vcc_lo, 0, v16, vcc_lo
	s_delay_alu instid0(VALU_DEP_2) | instskip(SKIP_1) | instid1(VALU_DEP_2)
	v_add_co_u32 v6, vcc_lo, v3, v15
	s_wait_alu 0xfffd
	v_add_co_ci_u32_e32 v10, vcc_lo, 0, v4, vcc_lo
	s_delay_alu instid0(VALU_DEP_2) | instskip(SKIP_1) | instid1(VALU_DEP_3)
	v_mul_lo_u32 v13, s29, v6
	v_mad_co_u64_u32 v[3:4], null, s28, v6, 0
	v_mul_lo_u32 v14, s28, v10
	s_delay_alu instid0(VALU_DEP_2) | instskip(NEXT) | instid1(VALU_DEP_2)
	v_sub_co_u32 v3, vcc_lo, v11, v3
	v_add3_u32 v4, v4, v14, v13
	s_delay_alu instid0(VALU_DEP_1) | instskip(SKIP_1) | instid1(VALU_DEP_1)
	v_sub_nc_u32_e32 v13, v12, v4
	s_wait_alu 0xfffd
	v_subrev_co_ci_u32_e64 v13, s2, s29, v13, vcc_lo
	v_add_co_u32 v14, s2, v6, 2
	s_wait_alu 0xf1ff
	v_add_co_ci_u32_e64 v15, s2, 0, v10, s2
	v_sub_co_u32 v16, s2, v3, s28
	v_sub_co_ci_u32_e32 v4, vcc_lo, v12, v4, vcc_lo
	s_wait_alu 0xf1ff
	v_subrev_co_ci_u32_e64 v13, s2, 0, v13, s2
	s_delay_alu instid0(VALU_DEP_3) | instskip(NEXT) | instid1(VALU_DEP_3)
	v_cmp_le_u32_e32 vcc_lo, s28, v16
	v_cmp_eq_u32_e64 s2, s29, v4
	s_wait_alu 0xfffd
	v_cndmask_b32_e64 v16, 0, -1, vcc_lo
	v_cmp_le_u32_e32 vcc_lo, s29, v13
	s_wait_alu 0xfffd
	v_cndmask_b32_e64 v17, 0, -1, vcc_lo
	v_cmp_le_u32_e32 vcc_lo, s28, v3
	;; [unrolled: 3-line block ×3, first 2 shown]
	s_wait_alu 0xfffd
	v_cndmask_b32_e64 v18, 0, -1, vcc_lo
	v_cmp_eq_u32_e32 vcc_lo, s29, v13
	s_wait_alu 0xf1ff
	s_delay_alu instid0(VALU_DEP_2)
	v_cndmask_b32_e64 v3, v18, v3, s2
	s_wait_alu 0xfffd
	v_cndmask_b32_e32 v13, v17, v16, vcc_lo
	v_add_co_u32 v16, vcc_lo, v6, 1
	s_wait_alu 0xfffd
	v_add_co_ci_u32_e32 v17, vcc_lo, 0, v10, vcc_lo
	s_delay_alu instid0(VALU_DEP_3) | instskip(SKIP_1) | instid1(VALU_DEP_2)
	v_cmp_ne_u32_e32 vcc_lo, 0, v13
	s_wait_alu 0xfffd
	v_dual_cndmask_b32 v4, v17, v15 :: v_dual_cndmask_b32 v13, v16, v14
	v_cmp_ne_u32_e32 vcc_lo, 0, v3
	s_wait_alu 0xfffd
	s_delay_alu instid0(VALU_DEP_2) | instskip(NEXT) | instid1(VALU_DEP_3)
	v_cndmask_b32_e32 v4, v10, v4, vcc_lo
	v_cndmask_b32_e32 v3, v6, v13, vcc_lo
.LBB0_4:                                ;   in Loop: Header=BB0_2 Depth=1
	s_wait_alu 0xfffe
	s_and_not1_saveexec_b32 s2, s30
	s_cbranch_execz .LBB0_6
; %bb.5:                                ;   in Loop: Header=BB0_2 Depth=1
	v_cvt_f32_u32_e32 v3, s28
	s_sub_co_i32 s30, 0, s28
	s_delay_alu instid0(VALU_DEP_1) | instskip(NEXT) | instid1(TRANS32_DEP_1)
	v_rcp_iflag_f32_e32 v3, v3
	v_mul_f32_e32 v3, 0x4f7ffffe, v3
	s_delay_alu instid0(VALU_DEP_1) | instskip(SKIP_1) | instid1(VALU_DEP_1)
	v_cvt_u32_f32_e32 v3, v3
	s_wait_alu 0xfffe
	v_mul_lo_u32 v4, s30, v3
	s_delay_alu instid0(VALU_DEP_1) | instskip(NEXT) | instid1(VALU_DEP_1)
	v_mul_hi_u32 v4, v3, v4
	v_add_nc_u32_e32 v3, v3, v4
	s_delay_alu instid0(VALU_DEP_1) | instskip(NEXT) | instid1(VALU_DEP_1)
	v_mul_hi_u32 v3, v11, v3
	v_mul_lo_u32 v4, v3, s28
	v_add_nc_u32_e32 v6, 1, v3
	s_delay_alu instid0(VALU_DEP_2) | instskip(NEXT) | instid1(VALU_DEP_1)
	v_sub_nc_u32_e32 v4, v11, v4
	v_subrev_nc_u32_e32 v10, s28, v4
	v_cmp_le_u32_e32 vcc_lo, s28, v4
	s_wait_alu 0xfffd
	s_delay_alu instid0(VALU_DEP_2) | instskip(SKIP_1) | instid1(VALU_DEP_2)
	v_cndmask_b32_e32 v4, v4, v10, vcc_lo
	v_cndmask_b32_e32 v3, v3, v6, vcc_lo
	v_cmp_le_u32_e32 vcc_lo, s28, v4
	v_mov_b32_e32 v4, v9
	s_delay_alu instid0(VALU_DEP_3) | instskip(SKIP_1) | instid1(VALU_DEP_1)
	v_add_nc_u32_e32 v6, 1, v3
	s_wait_alu 0xfffd
	v_cndmask_b32_e32 v3, v3, v6, vcc_lo
.LBB0_6:                                ;   in Loop: Header=BB0_2 Depth=1
	s_wait_alu 0xfffe
	s_or_b32 exec_lo, exec_lo, s2
	v_mul_lo_u32 v6, v4, s28
	s_delay_alu instid0(VALU_DEP_2)
	v_mul_lo_u32 v10, v3, s29
	s_load_b64 s[30:31], s[22:23], 0x0
	v_mad_co_u64_u32 v[13:14], null, v3, s28, 0
	s_load_b64 s[28:29], s[20:21], 0x0
	s_add_nc_u64 s[24:25], s[24:25], 1
	s_add_nc_u64 s[20:21], s[20:21], 8
	s_wait_alu 0xfffe
	v_cmp_ge_u64_e64 s2, s[24:25], s[10:11]
	s_add_nc_u64 s[22:23], s[22:23], 8
	s_add_nc_u64 s[26:27], s[26:27], 8
	v_add3_u32 v6, v14, v10, v6
	v_sub_co_u32 v10, vcc_lo, v11, v13
	s_wait_alu 0xfffd
	s_delay_alu instid0(VALU_DEP_2) | instskip(SKIP_2) | instid1(VALU_DEP_1)
	v_sub_co_ci_u32_e32 v6, vcc_lo, v12, v6, vcc_lo
	s_and_b32 vcc_lo, exec_lo, s2
	s_wait_kmcnt 0x0
	v_mul_lo_u32 v11, s30, v6
	v_mul_lo_u32 v12, s31, v10
	v_mad_co_u64_u32 v[7:8], null, s30, v10, v[7:8]
	v_mul_lo_u32 v6, s28, v6
	v_mul_lo_u32 v13, s29, v10
	v_mad_co_u64_u32 v[1:2], null, s28, v10, v[1:2]
	s_delay_alu instid0(VALU_DEP_4) | instskip(NEXT) | instid1(VALU_DEP_2)
	v_add3_u32 v8, v12, v8, v11
	v_add3_u32 v2, v13, v2, v6
	s_wait_alu 0xfffe
	s_cbranch_vccnz .LBB0_8
; %bb.7:                                ;   in Loop: Header=BB0_2 Depth=1
	v_dual_mov_b32 v12, v4 :: v_dual_mov_b32 v11, v3
	s_branch .LBB0_2
.LBB0_8:
	s_load_b64 s[0:1], s[0:1], 0x28
	v_mul_hi_u32 v33, 0xf0f0f10, v0
	s_lshl_b64 s[10:11], s[10:11], 3
                                        ; implicit-def: $sgpr2
                                        ; implicit-def: $vgpr6
	s_wait_kmcnt 0x0
	v_cmp_gt_u64_e32 vcc_lo, s[0:1], v[3:4]
	v_cmp_le_u64_e64 s0, s[0:1], v[3:4]
	s_delay_alu instid0(VALU_DEP_1)
	s_and_saveexec_b32 s1, s0
	s_wait_alu 0xfffe
	s_xor_b32 s0, exec_lo, s1
; %bb.9:
	v_mul_u32_u24_e32 v6, 17, v33
	s_mov_b32 s2, 0
                                        ; implicit-def: $vgpr33
                                        ; implicit-def: $vgpr7_vgpr8
	s_delay_alu instid0(VALU_DEP_1)
	v_sub_nc_u32_e32 v6, v0, v6
                                        ; implicit-def: $vgpr0
; %bb.10:
	s_wait_alu 0xfffe
	s_or_saveexec_b32 s1, s0
	v_dual_mov_b32 v9, s2 :: v_dual_mov_b32 v18, s2
	v_dual_mov_b32 v16, s2 :: v_dual_mov_b32 v17, s2
	;; [unrolled: 1-line block ×4, first 2 shown]
	s_add_nc_u64 s[2:3], s[14:15], s[10:11]
                                        ; implicit-def: $vgpr10
                                        ; implicit-def: $vgpr30
                                        ; implicit-def: $vgpr19
                                        ; implicit-def: $vgpr22
                                        ; implicit-def: $vgpr21
                                        ; implicit-def: $vgpr29
                                        ; implicit-def: $vgpr20
                                        ; implicit-def: $vgpr11
                                        ; implicit-def: $vgpr27
                                        ; implicit-def: $vgpr32
                                        ; implicit-def: $vgpr23
                                        ; implicit-def: $vgpr26
                                        ; implicit-def: $vgpr28
                                        ; implicit-def: $vgpr31
                                        ; implicit-def: $vgpr24
                                        ; implicit-def: $vgpr25
	s_wait_alu 0xfffe
	s_xor_b32 exec_lo, exec_lo, s1
	s_cbranch_execz .LBB0_12
; %bb.11:
	s_add_nc_u64 s[10:11], s[12:13], s[10:11]
	v_mul_u32_u24_e32 v6, 17, v33
	s_load_b64 s[10:11], s[10:11], 0x0
	v_lshlrev_b64_e32 v[7:8], 2, v[7:8]
	s_delay_alu instid0(VALU_DEP_2) | instskip(NEXT) | instid1(VALU_DEP_1)
	v_sub_nc_u32_e32 v6, v0, v6
	v_mad_co_u64_u32 v[9:10], null, s18, v6, 0
	v_add_nc_u32_e32 v20, 17, v6
	v_add_nc_u32_e32 v23, 34, v6
	;; [unrolled: 1-line block ×5, first 2 shown]
	v_mad_co_u64_u32 v[11:12], null, s18, v20, 0
	v_mov_b32_e32 v0, v10
	v_mad_co_u64_u32 v[13:14], null, s18, v23, 0
	s_wait_kmcnt 0x0
	v_mul_lo_u32 v10, s11, v3
	v_mul_lo_u32 v21, s10, v4
	v_mad_co_u64_u32 v[15:16], null, s10, v3, 0
	v_add_nc_u32_e32 v25, 0x44, v6
	v_mad_co_u64_u32 v[17:18], null, s19, v6, v[0:1]
	v_mov_b32_e32 v0, v12
	v_mad_co_u64_u32 v[18:19], null, s18, v24, 0
	v_add3_u32 v16, v16, v21, v10
	v_mov_b32_e32 v12, v14
	s_delay_alu instid0(VALU_DEP_4) | instskip(SKIP_1) | instid1(VALU_DEP_4)
	v_mad_co_u64_u32 v[20:21], null, s19, v20, v[0:1]
	v_mad_co_u64_u32 v[21:22], null, s18, v25, 0
	v_lshlrev_b64_e32 v[14:15], 2, v[15:16]
	v_mov_b32_e32 v10, v17
	v_mad_co_u64_u32 v[16:17], null, s19, v23, v[12:13]
	v_mov_b32_e32 v0, v19
	v_dual_mov_b32 v12, v20 :: v_dual_add_nc_u32 v41, 0xdd, v6
	v_add_co_u32 v17, s0, s4, v14
	s_wait_alu 0xf1ff
	v_add_co_ci_u32_e64 v15, s0, s5, v15, s0
	v_mov_b32_e32 v14, v16
	s_delay_alu instid0(VALU_DEP_3) | instskip(SKIP_1) | instid1(VALU_DEP_3)
	v_add_co_u32 v44, s0, v17, v7
	s_wait_alu 0xf1ff
	v_add_co_ci_u32_e64 v45, s0, v15, v8, s0
	v_lshlrev_b64_e32 v[7:8], 2, v[11:12]
	v_mad_co_u64_u32 v[11:12], null, s19, v24, v[0:1]
	v_dual_mov_b32 v0, v22 :: v_dual_add_nc_u32 v43, 0xff, v6
	v_add_nc_u32_e32 v20, 0x55, v6
	v_lshlrev_b64_e32 v[12:13], 2, v[13:14]
	s_delay_alu instid0(VALU_DEP_3) | instskip(SKIP_3) | instid1(VALU_DEP_4)
	v_mad_co_u64_u32 v[16:17], null, s19, v25, v[0:1]
	v_add_nc_u32_e32 v25, 0x77, v6
	v_lshlrev_b64_e32 v[9:10], 2, v[9:10]
	v_mad_co_u64_u32 v[14:15], null, s18, v20, 0
	v_dual_mov_b32 v19, v11 :: v_dual_mov_b32 v22, v16
	s_delay_alu instid0(VALU_DEP_3) | instskip(SKIP_1) | instid1(VALU_DEP_4)
	v_add_co_u32 v9, s0, v44, v9
	s_wait_alu 0xf1ff
	v_add_co_ci_u32_e64 v10, s0, v45, v10, s0
	v_add_co_u32 v7, s0, v44, v7
	s_wait_alu 0xf1ff
	v_add_co_ci_u32_e64 v8, s0, v45, v8, s0
	;; [unrolled: 3-line block ×3, first 2 shown]
	v_dual_mov_b32 v0, v15 :: v_dual_add_nc_u32 v13, 0x66, v6
	v_lshlrev_b64_e32 v[11:12], 2, v[18:19]
	s_delay_alu instid0(VALU_DEP_2) | instskip(NEXT) | instid1(VALU_DEP_3)
	v_mad_co_u64_u32 v[16:17], null, s18, v13, 0
	v_mad_co_u64_u32 v[18:19], null, s19, v20, v[0:1]
	s_delay_alu instid0(VALU_DEP_3) | instskip(SKIP_1) | instid1(VALU_DEP_4)
	v_add_co_u32 v19, s0, v44, v11
	s_wait_alu 0xf1ff
	v_add_co_ci_u32_e64 v20, s0, v45, v12, s0
	s_delay_alu instid0(VALU_DEP_4) | instskip(SKIP_3) | instid1(VALU_DEP_4)
	v_mov_b32_e32 v0, v17
	v_lshlrev_b64_e32 v[11:12], 2, v[21:22]
	v_mad_co_u64_u32 v[21:22], null, s18, v25, 0
	v_mov_b32_e32 v15, v18
	v_mad_co_u64_u32 v[17:18], null, s19, v13, v[0:1]
	v_add_nc_u32_e32 v18, 0x88, v6
	v_add_co_u32 v27, s0, v44, v11
	s_wait_alu 0xf1ff
	v_add_co_ci_u32_e64 v28, s0, v45, v12, s0
	v_lshlrev_b64_e32 v[11:12], 2, v[14:15]
	v_mad_co_u64_u32 v[13:14], null, s18, v18, 0
	v_mov_b32_e32 v0, v22
	s_delay_alu instid0(VALU_DEP_3) | instskip(NEXT) | instid1(VALU_DEP_2)
	v_add_co_u32 v33, s0, v44, v11
	v_mad_co_u64_u32 v[25:26], null, s19, v25, v[0:1]
	s_delay_alu instid0(VALU_DEP_4)
	v_mov_b32_e32 v0, v14
	v_add_nc_u32_e32 v26, 0x99, v6
	s_wait_alu 0xf1ff
	v_add_co_ci_u32_e64 v34, s0, v45, v12, s0
	v_lshlrev_b64_e32 v[11:12], 2, v[16:17]
	v_mad_co_u64_u32 v[17:18], null, s19, v18, v[0:1]
	v_mov_b32_e32 v22, v25
	v_mad_co_u64_u32 v[15:16], null, s18, v26, 0
	v_add_nc_u32_e32 v18, 0xaa, v6
	v_add_co_u32 v35, s0, v44, v11
	s_wait_alu 0xf1ff
	v_add_co_ci_u32_e64 v36, s0, v45, v12, s0
	v_lshlrev_b64_e32 v[11:12], 2, v[21:22]
	v_mad_co_u64_u32 v[21:22], null, s18, v18, 0
	v_mov_b32_e32 v0, v16
	v_mov_b32_e32 v14, v17
	s_delay_alu instid0(VALU_DEP_4) | instskip(NEXT) | instid1(VALU_DEP_3)
	v_add_co_u32 v37, s0, v44, v11
	v_mad_co_u64_u32 v[16:17], null, s19, v26, v[0:1]
	v_mov_b32_e32 v0, v22
	s_wait_alu 0xf1ff
	v_add_co_ci_u32_e64 v38, s0, v45, v12, s0
	v_lshlrev_b64_e32 v[11:12], 2, v[13:14]
	v_mad_co_u64_u32 v[25:26], null, s18, v32, 0
	v_mad_co_u64_u32 v[13:14], null, s19, v18, v[0:1]
	;; [unrolled: 1-line block ×3, first 2 shown]
	v_lshlrev_b64_e32 v[14:15], 2, v[15:16]
	v_add_co_u32 v11, s0, v44, v11
	s_wait_alu 0xf1ff
	v_add_co_ci_u32_e64 v12, s0, v45, v12, s0
	v_mov_b32_e32 v22, v13
	v_mov_b32_e32 v0, v18
	v_add_co_u32 v13, s0, v44, v14
	s_wait_alu 0xf1ff
	v_add_co_ci_u32_e64 v14, s0, v45, v15, s0
	s_delay_alu instid0(VALU_DEP_3) | instskip(SKIP_3) | instid1(VALU_DEP_4)
	v_mad_co_u64_u32 v[29:30], null, s19, v29, v[0:1]
	v_mad_co_u64_u32 v[30:31], null, s18, v41, 0
	v_mov_b32_e32 v0, v26
	v_lshlrev_b64_e32 v[15:16], 2, v[21:22]
	v_dual_mov_b32 v18, v29 :: v_dual_add_nc_u32 v29, 0xee, v6
	s_delay_alu instid0(VALU_DEP_3) | instskip(SKIP_1) | instid1(VALU_DEP_3)
	v_mad_co_u64_u32 v[21:22], null, s19, v32, v[0:1]
	v_mov_b32_e32 v0, v31
	v_lshlrev_b64_e32 v[17:18], 2, v[17:18]
	s_delay_alu instid0(VALU_DEP_4) | instskip(SKIP_1) | instid1(VALU_DEP_4)
	v_mad_co_u64_u32 v[39:40], null, s18, v29, 0
	v_add_co_u32 v15, s0, v44, v15
	v_mad_co_u64_u32 v[31:32], null, s19, v41, v[0:1]
	v_mad_co_u64_u32 v[41:42], null, s18, v43, 0
	s_delay_alu instid0(VALU_DEP_4)
	v_mov_b32_e32 v0, v40
	v_mov_b32_e32 v26, v21
	s_wait_alu 0xf1ff
	v_add_co_ci_u32_e64 v16, s0, v45, v16, s0
	v_add_co_u32 v17, s0, v44, v17
	v_mad_co_u64_u32 v[21:22], null, s19, v29, v[0:1]
	v_mov_b32_e32 v0, v42
	v_lshlrev_b64_e32 v[25:26], 2, v[25:26]
	v_lshlrev_b64_e32 v[29:30], 2, v[30:31]
	s_wait_alu 0xf1ff
	v_add_co_ci_u32_e64 v18, s0, v45, v18, s0
	v_mad_co_u64_u32 v[42:43], null, s19, v43, v[0:1]
	v_mov_b32_e32 v40, v21
	v_add_co_u32 v25, s0, v44, v25
	s_wait_alu 0xf1ff
	v_add_co_ci_u32_e64 v26, s0, v45, v26, s0
	s_delay_alu instid0(VALU_DEP_3) | instskip(SKIP_4) | instid1(VALU_DEP_4)
	v_lshlrev_b64_e32 v[21:22], 2, v[39:40]
	v_add_co_u32 v39, s0, v44, v29
	s_wait_alu 0xf1ff
	v_add_co_ci_u32_e64 v40, s0, v45, v30, s0
	v_lshlrev_b64_e32 v[29:30], 2, v[41:42]
	v_add_co_u32 v41, s0, v44, v21
	s_wait_alu 0xf1ff
	v_add_co_ci_u32_e64 v42, s0, v45, v22, s0
	s_delay_alu instid0(VALU_DEP_3)
	v_add_co_u32 v43, s0, v44, v29
	s_wait_alu 0xf1ff
	v_add_co_ci_u32_e64 v44, s0, v45, v30, s0
	s_clause 0xf
	global_load_b32 v30, v[11:12], off
	global_load_b32 v22, v[13:14], off
	;; [unrolled: 1-line block ×16, first 2 shown]
	s_wait_loadcnt 0xf
	v_lshrrev_b32_e32 v10, 16, v30
	s_wait_loadcnt 0xe
	v_lshrrev_b32_e32 v19, 16, v22
	;; [unrolled: 2-line block ×8, first 2 shown]
.LBB0_12:
	s_or_b32 exec_lo, exec_lo, s1
	v_mul_hi_u32 v0, 0x24924925, v5
	s_wait_loadcnt 0x7
	v_sub_f16_e32 v30, v9, v30
	s_wait_loadcnt 0x3
	v_lshrrev_b32_e32 v8, 16, v18
	v_sub_f16_e32 v7, v18, v32
	v_lshrrev_b32_e32 v32, 16, v16
	s_wait_loadcnt 0x1
	v_lshrrev_b32_e32 v33, 16, v17
	v_lshrrev_b32_e32 v35, 16, v12
	;; [unrolled: 1-line block ×3, first 2 shown]
	v_sub_nc_u32_e32 v34, v5, v0
	v_lshrrev_b32_e32 v37, 16, v14
	v_sub_f16_e32 v29, v16, v29
	v_sub_f16_e32 v31, v17, v31
	;; [unrolled: 1-line block ×3, first 2 shown]
	v_lshrrev_b32_e32 v34, 1, v34
	v_sub_f16_e32 v38, v14, v11
	s_wait_loadcnt 0x0
	v_lshrrev_b32_e32 v39, 16, v13
	v_sub_f16_e32 v11, v8, v27
	v_fma_f16 v18, v18, 2.0, -v7
	v_add_nc_u32_e32 v0, v34, v0
	v_fma_f16 v34, v9, 2.0, -v30
	v_sub_f16_e32 v27, v32, v21
	v_sub_f16_e32 v21, v33, v28
	v_sub_f16_e32 v19, v35, v19
	v_lshrrev_b32_e32 v0, 2, v0
	v_sub_f16_e32 v23, v36, v23
	v_sub_f16_e32 v20, v37, v20
	v_fma_f16 v16, v16, 2.0, -v29
	v_fma_f16 v17, v17, 2.0, -v31
	v_mul_lo_u32 v0, v0, 7
	v_fma_f16 v28, v12, 2.0, -v22
	v_sub_f16_e32 v40, v39, v24
	v_fma_f16 v12, v32, 2.0, -v27
	v_fma_f16 v24, v33, 2.0, -v21
	v_fma_f16 v32, v35, 2.0, -v19
	v_fma_f16 v33, v36, 2.0, -v23
	v_sub_f16_e32 v26, v15, v26
	v_sub_nc_u32_e32 v0, v5, v0
	v_sub_f16_e32 v25, v13, v25
	v_fma_f16 v36, v39, 2.0, -v40
	v_sub_f16_e32 v5, v16, v17
	v_fma_f16 v15, v15, 2.0, -v26
	v_mul_u32_u24_e32 v50, 0x110, v0
	v_sub_f16_e32 v0, v34, v18
	v_fma_f16 v18, v37, 2.0, -v20
	v_sub_f16_e32 v37, v29, v21
	v_fma_f16 v14, v14, 2.0, -v38
	v_fma_f16 v13, v13, 2.0, -v25
	v_sub_f16_e32 v35, v30, v11
	v_sub_f16_e32 v21, v12, v24
	v_fma_f16 v17, v29, 2.0, -v37
	v_sub_f16_e32 v29, v32, v33
	v_sub_f16_e32 v41, v22, v23
	v_fma_f16 v30, v30, 2.0, -v35
	v_add_f16_e32 v31, v27, v31
	v_sub_f16_e32 v15, v28, v15
	v_fma_f16 v24, v32, 2.0, -v29
	v_sub_f16_e32 v32, v18, v36
	v_sub_f16_e32 v36, v38, v40
	v_add_f16_e32 v42, v19, v26
	v_sub_f16_e32 v13, v14, v13
	v_fma_f16 v22, v22, 2.0, -v41
	v_add_f16_e32 v25, v20, v25
	v_fma_f16 v33, v38, 2.0, -v36
	v_fma_f16 v27, v27, 2.0, -v31
	;; [unrolled: 1-line block ×5, first 2 shown]
	v_fmamk_f16 v47, v17, 0xb9a8, v30
	v_fma_f16 v39, v20, 2.0, -v25
	v_fmamk_f16 v14, v33, 0xb9a8, v22
	v_fma_f16 v18, v18, 2.0, -v32
	v_fmamk_f16 v51, v37, 0x39a8, v35
	v_sub_f16_e32 v52, v15, v32
	v_fmamk_f16 v32, v36, 0x39a8, v41
	v_fma_f16 v34, v34, 2.0, -v0
	v_fma_f16 v16, v16, 2.0, -v5
	v_fmac_f16_e32 v47, 0xb9a8, v27
	v_fmamk_f16 v20, v39, 0xb9a8, v28
	v_fmac_f16_e32 v14, 0xb9a8, v39
	v_sub_f16_e32 v49, v0, v21
	v_fmac_f16_e32 v51, 0xb9a8, v31
	v_fmamk_f16 v39, v25, 0x39a8, v42
	v_fmac_f16_e32 v32, 0xb9a8, v25
	v_sub_f16_e32 v43, v34, v16
	v_mul_f16_e32 v16, 0x39a8, v17
	v_mul_f16_e32 v17, 0x39a8, v27
	v_fma_f16 v27, v30, 2.0, -v47
	v_sub_f16_e32 v19, v26, v19
	v_sub_f16_e32 v46, v24, v18
	v_fmac_f16_e32 v20, 0x39a8, v33
	v_fma_f16 v18, v22, 2.0, -v14
	v_fma_f16 v48, v0, 2.0, -v49
	v_mul_f16_e32 v38, 0x39a8, v31
	v_fma_f16 v31, v35, 2.0, -v51
	v_add_f16_e32 v53, v29, v13
	v_fma_f16 v15, v15, 2.0, -v52
	v_fmac_f16_e32 v39, 0x39a8, v36
	v_fma_f16 v41, v41, 2.0, -v32
	v_fma_f16 v0, v26, 2.0, -v19
	;; [unrolled: 1-line block ×3, first 2 shown]
	v_fmamk_f16 v33, v18, 0xbb64, v27
	v_fma_f16 v44, v34, 2.0, -v43
	v_fma_f16 v22, v29, 2.0, -v53
	v_fmamk_f16 v30, v15, 0xb9a8, v48
	v_fma_f16 v40, v42, 2.0, -v39
	v_fmamk_f16 v29, v41, 0xb61f, v31
	v_fmac_f16_e32 v33, 0xb61f, v26
	v_fmamk_f16 v25, v14, 0x361f, v47
	v_fmamk_f16 v36, v52, 0x39a8, v49
	;; [unrolled: 1-line block ×3, first 2 shown]
	s_load_b64 s[2:3], s[2:3], 0x0
	v_sub_f16_e32 v34, v44, v0
	v_fmac_f16_e32 v30, 0xb9a8, v22
	v_fmac_f16_e32 v29, 0xbb64, v40
	v_fma_f16 v13, v27, 2.0, -v33
	v_sub_f16_e32 v27, v43, v46
	v_fmac_f16_e32 v25, 0xbb64, v20
	v_fmac_f16_e32 v36, 0xb9a8, v53
	;; [unrolled: 1-line block ×3, first 2 shown]
	v_fma_f16 v0, v44, 2.0, -v34
	v_mul_f16_e32 v45, 0x39a8, v15
	v_mul_f16_e32 v44, 0x39a8, v22
	v_fma_f16 v15, v48, 2.0, -v30
	v_fma_f16 v22, v31, 2.0, -v29
	v_lshl_add_u32 v48, v6, 5, 0
	v_mul_f16_e32 v23, 0x39a8, v37
	v_fma_f16 v35, v43, 2.0, -v27
	v_fma_f16 v37, v47, 2.0, -v25
	;; [unrolled: 1-line block ×4, first 2 shown]
	v_lshl_add_u32 v56, v50, 1, v48
	v_pack_b32_f16 v31, v15, v22
	v_pack_b32_f16 v51, v0, v13
	v_mul_f16_e32 v49, 0x39a8, v52
	v_pack_b32_f16 v52, v42, v43
	v_pack_b32_f16 v54, v35, v37
	;; [unrolled: 1-line block ×6, first 2 shown]
	v_mul_f16_e32 v47, 0x39a8, v53
	ds_store_2addr_b32 v56, v51, v31 offset1:1
	ds_store_2addr_b32 v56, v54, v52 offset0:2 offset1:3
	ds_store_2addr_b32 v56, v57, v55 offset0:4 offset1:5
	ds_store_2addr_b32 v56, v59, v58 offset0:6 offset1:7
	v_cmp_gt_u32_e64 s0, 16, v6
	v_lshlrev_b32_e32 v54, 1, v50
	v_lshlrev_b32_e32 v55, 1, v6
	global_wb scope:SCOPE_SE
	s_wait_dscnt 0x0
	s_wait_kmcnt 0x0
	s_barrier_signal -1
	s_barrier_wait -1
	global_inv scope:SCOPE_SE
                                        ; implicit-def: $vgpr31
	s_and_saveexec_b32 s1, s0
	s_cbranch_execz .LBB0_14
; %bb.13:
	v_mul_i32_i24_e32 v0, 0xffffffe2, v6
	v_add3_u32 v13, 0, v54, v55
	s_delay_alu instid0(VALU_DEP_2)
	v_add3_u32 v31, v48, v0, v54
	ds_load_u16 v0, v13
	ds_load_u16 v13, v31 offset:32
	ds_load_u16 v15, v31 offset:64
	;; [unrolled: 1-line block ×16, first 2 shown]
.LBB0_14:
	s_wait_alu 0xfffe
	s_or_b32 exec_lo, exec_lo, s1
	v_lshrrev_b32_e32 v9, 16, v9
	v_fma_f16 v8, v8, 2.0, -v11
	v_fma_f16 v11, v12, 2.0, -v21
	;; [unrolled: 1-line block ×3, first 2 shown]
	global_wb scope:SCOPE_SE
	s_wait_dscnt 0x0
	v_sub_f16_e32 v10, v9, v10
	s_barrier_signal -1
	s_barrier_wait -1
	global_inv scope:SCOPE_SE
	v_add_f16_e32 v7, v10, v7
	v_fma_f16 v9, v9, 2.0, -v10
	s_delay_alu instid0(VALU_DEP_2) | instskip(NEXT) | instid1(VALU_DEP_2)
	v_fma_f16 v10, v10, 2.0, -v7
	v_sub_f16_e32 v8, v9, v8
	v_add_f16_e32 v21, v7, v38
	s_delay_alu instid0(VALU_DEP_3) | instskip(NEXT) | instid1(VALU_DEP_3)
	v_sub_f16_e32 v17, v10, v17
	v_fma_f16 v9, v9, 2.0, -v8
	v_add_f16_e32 v5, v8, v5
	s_delay_alu instid0(VALU_DEP_4) | instskip(NEXT) | instid1(VALU_DEP_4)
	v_add_f16_e32 v21, v23, v21
	v_add_f16_e32 v16, v16, v17
	s_delay_alu instid0(VALU_DEP_4) | instskip(NEXT) | instid1(VALU_DEP_4)
	v_sub_f16_e32 v11, v9, v11
	v_fma_f16 v8, v8, 2.0, -v5
	s_delay_alu instid0(VALU_DEP_4)
	v_fma_f16 v7, v7, 2.0, -v21
	v_add_f16_e32 v17, v5, v47
	v_fma_f16 v10, v10, 2.0, -v16
	v_fmamk_f16 v48, v39, 0x3b64, v21
	v_fma_f16 v9, v9, 2.0, -v11
	v_sub_f16_e32 v23, v8, v44
	v_fmamk_f16 v39, v40, 0xb61f, v7
	v_fmamk_f16 v38, v26, 0xbb64, v10
	;; [unrolled: 1-line block ×3, first 2 shown]
	v_add_f16_e32 v49, v49, v17
	v_fmac_f16_e32 v48, 0x361f, v32
	v_sub_f16_e32 v32, v9, v12
	v_add_f16_e32 v40, v45, v23
	v_fmac_f16_e32 v39, 0x3b64, v41
	v_fmac_f16_e32 v38, 0x361f, v18
	v_add_f16_e32 v44, v11, v19
	v_fmac_f16_e32 v47, 0x3b64, v14
	v_fma_f16 v45, v5, 2.0, -v49
	v_fma_f16 v5, v9, 2.0, -v32
	;; [unrolled: 1-line block ×8, first 2 shown]
	v_pack_b32_f16 v9, v52, v51
	v_pack_b32_f16 v10, v5, v53
	;; [unrolled: 1-line block ×8, first 2 shown]
	ds_store_2addr_b32 v56, v10, v9 offset1:1
	ds_store_2addr_b32 v56, v12, v7 offset0:2 offset1:3
	ds_store_2addr_b32 v56, v14, v8 offset0:4 offset1:5
	;; [unrolled: 1-line block ×3, first 2 shown]
	global_wb scope:SCOPE_SE
	s_wait_dscnt 0x0
	s_barrier_signal -1
	s_barrier_wait -1
	global_inv scope:SCOPE_SE
                                        ; implicit-def: $vgpr56
	s_and_saveexec_b32 s1, s0
	s_cbranch_execz .LBB0_16
; %bb.15:
	v_add3_u32 v5, 0, v54, v55
	v_add3_u32 v7, 0, v55, v54
	ds_load_u16 v5, v5
	ds_load_u16 v53, v7 offset:32
	ds_load_u16 v52, v7 offset:64
	;; [unrolled: 1-line block ×16, first 2 shown]
.LBB0_16:
	s_wait_alu 0xfffe
	s_or_b32 exec_lo, exec_lo, s1
	v_cmp_gt_u32_e64 s0, 16, v6
	s_delay_alu instid0(VALU_DEP_1)
	s_and_b32 s0, vcc_lo, s0
	s_wait_alu 0xfffe
	s_and_saveexec_b32 s1, s0
	s_cbranch_execz .LBB0_18
; %bb.17:
	v_lshlrev_b32_e32 v7, 4, v6
	v_mul_lo_u32 v8, s2, v4
	s_delay_alu instid0(VALU_DEP_2) | instskip(NEXT) | instid1(VALU_DEP_1)
	v_and_b32_e32 v7, 0xf0, v7
	v_lshlrev_b32_e32 v7, 2, v7
	s_clause 0x3
	global_load_b128 v[57:60], v7, s[8:9] offset:48
	global_load_b128 v[61:64], v7, s[8:9]
	global_load_b128 v[65:68], v7, s[8:9] offset:32
	global_load_b128 v[69:72], v7, s[8:9] offset:16
	v_mul_lo_u32 v7, s3, v3
	v_mad_co_u64_u32 v[3:4], null, s2, v3, 0
	s_delay_alu instid0(VALU_DEP_1) | instskip(NEXT) | instid1(VALU_DEP_1)
	v_add3_u32 v4, v4, v8, v7
	v_lshlrev_b64_e32 v[3:4], 2, v[3:4]
	s_delay_alu instid0(VALU_DEP_1) | instskip(SKIP_1) | instid1(VALU_DEP_2)
	v_add_co_u32 v3, vcc_lo, s6, v3
	s_wait_alu 0xfffd
	v_add_co_ci_u32_e32 v4, vcc_lo, s7, v4, vcc_lo
	s_wait_loadcnt 0x3
	v_lshrrev_b32_e32 v74, 16, v60
	s_wait_dscnt 0x0
	v_mul_f16_e32 v7, v56, v60
	s_wait_loadcnt 0x2
	v_lshrrev_b32_e32 v75, 16, v61
	v_mul_f16_e32 v21, v53, v61
	s_wait_loadcnt 0x1
	v_lshrrev_b32_e32 v82, 16, v68
	v_lshrrev_b32_e32 v55, 16, v58
	;; [unrolled: 1-line block ×5, first 2 shown]
	v_mul_f16_e32 v8, v48, v59
	v_mul_f16_e32 v19, v52, v62
	;; [unrolled: 1-line block ×4, first 2 shown]
	s_wait_loadcnt 0x0
	v_lshrrev_b32_e32 v85, 16, v71
	v_lshrrev_b32_e32 v86, 16, v72
	v_fmac_f16_e32 v7, v31, v74
	v_fmac_f16_e32 v21, v13, v75
	v_mul_f16_e32 v53, v53, v75
	v_mul_f16_e32 v56, v56, v74
	;; [unrolled: 1-line block ×3, first 2 shown]
	v_lshrrev_b32_e32 v77, 16, v63
	v_mul_f16_e32 v18, v51, v63
	v_mul_f16_e32 v16, v46, v64
	v_lshrrev_b32_e32 v79, 16, v65
	v_lshrrev_b32_e32 v80, 16, v66
	;; [unrolled: 1-line block ×3, first 2 shown]
	v_mul_f16_e32 v24, v41, v71
	v_mul_f16_e32 v23, v38, v65
	;; [unrolled: 1-line block ×3, first 2 shown]
	v_fmac_f16_e32 v8, v28, v73
	v_fmac_f16_e32 v19, v15, v76
	v_mul_f16_e32 v52, v52, v76
	v_mul_f16_e32 v48, v48, v73
	v_fmac_f16_e32 v9, v36, v55
	v_mul_f16_e32 v49, v49, v55
	v_mul_f16_e32 v46, v46, v78
	v_fmac_f16_e32 v11, v27, v82
	v_mul_f16_e32 v55, v41, v85
	v_mul_f16_e32 v74, v32, v86
	v_add_f16_e32 v32, v7, v21
	v_fma_f16 v41, v13, v61, -v53
	v_fma_f16 v13, v31, v60, -v56
	;; [unrolled: 1-line block ×3, first 2 shown]
	v_sub_f16_e32 v44, v21, v7
	v_lshrrev_b32_e32 v54, 16, v57
	v_mul_f16_e32 v10, v47, v57
	v_lshrrev_b32_e32 v81, 16, v67
	v_mul_f16_e32 v20, v45, v70
	v_mul_f16_e32 v14, v40, v66
	v_fmac_f16_e32 v18, v22, v77
	v_mul_f16_e32 v51, v51, v77
	v_fmac_f16_e32 v16, v35, v78
	;; [unrolled: 2-line block ×4, first 2 shown]
	v_fmac_f16_e32 v26, v34, v86
	v_mul_f16_e32 v75, v38, v79
	v_add_f16_e32 v31, v8, v19
	v_fma_f16 v40, v15, v62, -v52
	v_fma_f16 v15, v28, v59, -v48
	v_fma_f16 v38, v35, v64, -v46
	v_fma_f16 v35, v43, v71, -v55
	v_sub_f16_e32 v43, v19, v8
	v_sub_f16_e32 v79, v41, v13
	v_add_f16_e32 v60, v13, v41
	v_mul_f16_e32 v86, 0xb964, v44
	v_mul_f16_e32 v114, 0x3722, v32
	;; [unrolled: 1-line block ×3, first 2 shown]
	v_mul_f16_e64 v131, 0x2de8, v32
	v_mul_f16_e32 v120, 0xbbf7, v44
	v_mul_f16_e64 v149, 0xb461, v32
	v_mul_f16_e64 v138, 0xbbb2, v44
	v_lshrrev_b32_e32 v83, 16, v69
	v_mul_f16_e32 v17, v50, v69
	v_mul_f16_e32 v12, v39, v67
	v_fmac_f16_e32 v10, v25, v54
	v_mul_f16_e32 v47, v47, v54
	v_fmac_f16_e32 v20, v42, v84
	v_mul_f16_e32 v54, v39, v81
	v_add_f16_e32 v28, v9, v18
	v_fma_f16 v39, v22, v63, -v51
	v_fma_f16 v22, v36, v58, -v49
	;; [unrolled: 1-line block ×4, first 2 shown]
	v_sub_f16_e32 v42, v18, v9
	v_sub_f16_e32 v77, v40, v15
	v_add_f16_e32 v56, v15, v40
	v_mul_f16_e32 v84, 0xbbf7, v43
	v_mul_f16_e32 v111, 0xb8d2, v31
	;; [unrolled: 1-line block ×3, first 2 shown]
	v_mul_f16_e64 v128, 0xbbdd, v31
	v_mul_f16_e32 v119, 0xb1e1, v43
	v_mul_f16_e64 v147, 0xbacd, v31
	v_mul_f16_e64 v136, 0x3836, v43
	v_fmamk_f16 v58, v60, 0x39e9, v86
	v_fmamk_f16 v61, v79, 0x3b29, v114
	;; [unrolled: 1-line block ×3, first 2 shown]
	v_fma_f16 v71, 0x3bf7, v79, v131
	v_fmamk_f16 v75, v60, 0x2de8, v120
	v_fma_f16 v89, 0x3bb2, v79, v149
	v_fma_f16 v178, 0xb461, v60, v138
	v_fmac_f16_e32 v17, v37, v83
	v_mul_f16_e32 v50, v50, v83
	v_fmac_f16_e32 v12, v29, v81
	v_fmac_f16_e32 v14, v30, v80
	v_fma_f16 v25, v25, v57, -v47
	v_fma_f16 v29, v29, v67, -v54
	;; [unrolled: 1-line block ×3, first 2 shown]
	v_add_f16_e32 v45, v10, v16
	v_sub_f16_e32 v49, v16, v10
	v_mul_f16_e32 v92, 0x39e9, v32
	v_sub_f16_e32 v76, v39, v22
	v_add_f16_e32 v54, v22, v39
	v_mul_f16_e32 v83, 0xba62, v42
	v_mul_f16_e64 v165, 0xb8d2, v32
	v_mul_f16_e64 v155, 0xba62, v44
	v_mul_f16_e32 v110, 0xbbdd, v28
	v_mul_f16_e32 v105, 0x31e1, v42
	;; [unrolled: 1-line block ×4, first 2 shown]
	v_mul_f16_e64 v144, 0x39e9, v28
	v_mul_f16_e64 v141, 0x3964, v42
	v_fmamk_f16 v59, v56, 0x2de8, v84
	v_fmamk_f16 v62, v77, 0x3a62, v111
	;; [unrolled: 1-line block ×3, first 2 shown]
	v_fma_f16 v72, 0x31e1, v77, v128
	v_fmamk_f16 v80, v56, 0xbbdd, v119
	v_fma_f16 v100, 0xb836, v77, v147
	v_fma_f16 v179, 0xbacd, v56, v136
	v_add_f16_e32 v58, v0, v58
	v_add_f16_e32 v61, v5, v61
	;; [unrolled: 1-line block ×6, first 2 shown]
	v_add_f16_e64 v178, v0, v178
	v_fma_f16 v37, v37, v69, -v50
	v_fma_f16 v30, v30, v66, -v73
	v_add_f16_e32 v46, v11, v17
	v_sub_f16_e32 v51, v17, v11
	v_mul_f16_e32 v90, 0x2de8, v31
	v_mul_f16_e64 v134, 0xb461, v31
	v_mul_f16_e64 v140, 0x3bb2, v43
	;; [unrolled: 1-line block ×4, first 2 shown]
	v_sub_f16_e32 v81, v38, v25
	v_add_f16_e32 v66, v25, v38
	v_mul_f16_e32 v87, 0xb1e1, v49
	v_mul_f16_e32 v112, 0xb461, v45
	;; [unrolled: 1-line block ×3, first 2 shown]
	v_mul_f16_e64 v129, 0x3b76, v45
	v_mul_f16_e32 v121, 0x35c8, v49
	v_mul_f16_e64 v146, 0x3722, v45
	v_mul_f16_e64 v137, 0xbb29, v49
	v_fmamk_f16 v53, v79, 0x3964, v92
	v_fma_f16 v180, 0x3a62, v79, v165
	v_fma_f16 v182, 0xb8d2, v60, v155
	;; [unrolled: 1-line block ×9, first 2 shown]
	v_add_f16_e32 v58, v58, v59
	v_add_f16_e32 v61, v61, v62
	;; [unrolled: 1-line block ×6, first 2 shown]
	v_add_f16_e64 v178, v178, v179
	v_add_f16_e32 v47, v12, v20
	v_sub_f16_e32 v52, v20, v12
	v_mul_f16_e32 v85, 0xb8d2, v28
	v_mul_f16_e32 v109, 0x3722, v31
	;; [unrolled: 1-line block ×3, first 2 shown]
	v_mul_f16_e64 v159, 0x3b76, v28
	v_mul_f16_e64 v156, 0xb5c8, v42
	v_sub_f16_e32 v82, v37, v27
	v_add_f16_e32 v68, v27, v37
	v_mul_f16_e32 v88, 0x3836, v51
	v_mul_f16_e32 v115, 0x39e9, v46
	;; [unrolled: 1-line block ×3, first 2 shown]
	v_mul_f16_e64 v132, 0x3722, v46
	v_mul_f16_e32 v124, 0xbb29, v51
	v_mul_f16_e64 v150, 0xbbdd, v46
	v_mul_f16_e64 v142, 0xb1e1, v51
	v_fmamk_f16 v55, v77, 0x3bf7, v90
	v_fma_f16 v181, 0xbbb2, v77, v134
	v_fma_f16 v183, 0xb461, v56, v140
	v_fma_f16 v184, 0x3836, v79, v173
	v_fma_f16 v186, 0xbacd, v60, v167
	v_fma_f16 v200, 0xbbdd, v66, v87
	v_fma_f16 v202, 0xbbb2, v81, v112
	v_fma_f16 v203, 0xb461, v66, v103
	v_fma_f16 v204, 0xb5c8, v81, v129
	v_fma_f16 v205, 0x3b76, v66, v121
	v_fma_f16 v206, 0x3b29, v81, v146
	v_fma_f16 v207, 0x3722, v66, v137
	v_add_f16_e32 v53, v5, v53
	v_add_f16_e64 v180, v5, v180
	v_add_f16_e64 v182, v0, v182
	;; [unrolled: 1-line block ×9, first 2 shown]
	v_add_f16_e32 v48, v14, v24
	v_sub_f16_e32 v57, v24, v14
	v_mul_f16_e64 v168, 0x2de8, v28
	v_mul_f16_e32 v94, 0xbbdd, v45
	v_mul_f16_e64 v160, 0xbacd, v45
	v_mul_f16_e64 v153, 0xb836, v49
	v_sub_f16_e32 v78, v36, v29
	v_add_f16_e32 v69, v29, v36
	v_mul_f16_e32 v113, 0x3b76, v47
	v_mul_f16_e32 v107, 0xb5c8, v52
	v_mul_f16_e64 v130, 0xbacd, v47
	v_mul_f16_e64 v143, 0x3bf7, v52
	;; [unrolled: 1-line block ×3, first 2 shown]
	v_fma_f16 v185, 0xbb29, v77, v109
	v_fma_f16 v187, 0x3722, v56, v118
	;; [unrolled: 1-line block ×5, first 2 shown]
	v_add_f16_e32 v53, v53, v55
	v_fmamk_f16 v55, v68, 0xbacd, v88
	v_fmamk_f16 v62, v82, 0xb964, v115
	;; [unrolled: 1-line block ×3, first 2 shown]
	v_fma_f16 v72, 0x3b29, v82, v132
	v_fmamk_f16 v80, v68, 0x3722, v124
	v_fma_f16 v100, 0x31e1, v82, v150
	v_fma_f16 v179, 0xbbdd, v68, v142
	v_add_f16_e64 v184, v5, v184
	v_add_f16_e64 v180, v180, v181
	;; [unrolled: 1-line block ×11, first 2 shown]
	v_add_f16_e32 v50, v23, v26
	v_sub_f16_e32 v63, v26, v23
	v_mul_f16_e64 v169, 0xb8d2, v45
	v_mul_f16_e32 v98, 0xbacd, v46
	v_mul_f16_e64 v163, 0x2de8, v46
	v_mul_f16_e64 v157, 0x3bf7, v51
	v_mul_f16_e32 v125, 0xb836, v52
	v_sub_f16_e32 v74, v35, v30
	v_add_f16_e32 v70, v30, v35
	v_mul_f16_e32 v116, 0x2de8, v48
	v_mul_f16_e32 v104, 0xbbf7, v57
	v_mul_f16_e64 v133, 0xb8d2, v48
	v_mul_f16_e64 v139, 0xb5c8, v57
	;; [unrolled: 1-line block ×3, first 2 shown]
	v_fma_f16 v198, 0x3bf7, v76, v168
	v_fma_f16 v199, 0x31e1, v81, v94
	;; [unrolled: 1-line block ×5, first 2 shown]
	v_add_f16_e64 v184, v184, v185
	v_add_f16_e64 v186, v186, v187
	;; [unrolled: 1-line block ×3, first 2 shown]
	v_fma_f16 v189, 0x35c8, v78, v113
	v_fma_f16 v190, 0x3b76, v69, v107
	v_fma_f16 v191, 0x3836, v78, v130
	v_fma_f16 v194, 0x2de8, v69, v143
	v_add_f16_e64 v180, v180, v196
	v_add_f16_e64 v182, v182, v197
	v_add_f16_e32 v55, v58, v55
	v_add_f16_e32 v58, v61, v62
	;; [unrolled: 1-line block ×6, first 2 shown]
	v_add_f16_e64 v89, v178, v179
	v_mul_f16_e64 v171, 0x3b76, v46
	v_mul_f16_e64 v148, 0x2de8, v47
	;; [unrolled: 1-line block ×4, first 2 shown]
	v_mul_f16_e32 v122, 0x3a62, v57
	v_sub_f16_e32 v73, v34, v33
	v_add_f16_e32 v67, v33, v34
	v_mul_f16_e32 v117, 0xbacd, v50
	v_mul_f16_e32 v108, 0xb836, v63
	v_mul_f16_e64 v135, 0x39e9, v50
	v_mul_f16_e64 v145, 0xba62, v63
	v_fma_f16 v210, 0xba62, v81, v169
	v_fma_f16 v211, 0xb836, v82, v98
	;; [unrolled: 1-line block ×6, first 2 shown]
	v_add_f16_e64 v184, v184, v198
	v_add_f16_e64 v186, v186, v201
	;; [unrolled: 1-line block ×3, first 2 shown]
	v_fma_f16 v199, 0x3bf7, v74, v116
	v_fma_f16 v200, 0x2de8, v70, v104
	;; [unrolled: 1-line block ×4, first 2 shown]
	v_add_f16_e64 v180, v180, v208
	v_add_f16_e64 v182, v182, v209
	;; [unrolled: 1-line block ×6, first 2 shown]
	v_mul_f16_e64 v170, 0xbbdd, v47
	v_mul_f16_e64 v151, 0x3b76, v48
	;; [unrolled: 1-line block ×4, first 2 shown]
	v_mul_f16_e32 v127, 0x3964, v63
	v_fma_f16 v185, 0x35c8, v82, v171
	v_fma_f16 v193, 0xbbf7, v78, v148
	;; [unrolled: 1-line block ×5, first 2 shown]
	v_add_f16_e64 v184, v184, v210
	v_add_f16_e64 v186, v186, v59
	v_fmamk_f16 v59, v73, 0x3836, v117
	v_add_f16_e64 v53, v53, v211
	v_fma_f16 v211, 0xbacd, v67, v108
	v_fma_f16 v212, 0xb964, v73, v135
	v_fma_f16 v71, 0xb8d2, v67, v145
	v_add_f16_e64 v100, v180, v181
	v_add_f16_e64 v178, v182, v183
	;; [unrolled: 1-line block ×7, first 2 shown]
	v_fma_f16 v86, v60, 0x39e9, -v86
	v_mul_f16_e64 v172, 0x39e9, v48
	v_mul_f16_e64 v152, 0xb8d2, v50
	;; [unrolled: 1-line block ×5, first 2 shown]
	v_fma_f16 v197, 0x31e1, v78, v170
	v_fma_f16 v204, 0x35c8, v74, v151
	;; [unrolled: 1-line block ×4, first 2 shown]
	v_fmamk_f16 v62, v67, 0x39e9, v127
	v_add_f16_e64 v179, v184, v185
	v_add_f16_e64 v80, v80, v193
	;; [unrolled: 1-line block ×5, first 2 shown]
	v_add_f16_e32 v58, v58, v59
	v_add_f16_e64 v59, v61, v211
	v_add_f16_e64 v61, v65, v212
	v_add_f16_e32 v65, v89, v71
	v_mul_f16_e32 v89, 0xbbdd, v32
	v_fma_f16 v102, v60, 0x3722, -v102
	v_add_f16_e32 v86, v0, v86
	v_fma_f16 v84, v56, 0x2de8, -v84
	v_mul_f16_e64 v177, 0xb1e1, v52
	v_fma_f16 v208, 0xb964, v74, v172
	v_fma_f16 v64, 0x3a62, v73, v152
	;; [unrolled: 1-line block ×3, first 2 shown]
	v_add_f16_e64 v179, v179, v197
	v_add_f16_e64 v80, v80, v204
	;; [unrolled: 1-line block ×4, first 2 shown]
	v_add_f16_e32 v62, v72, v62
	v_fma_f16 v71, 0xbb29, v73, v166
	v_fma_f16 v72, 0x3722, v67, v162
	v_mul_f16_e64 v180, 0xb461, v50
	v_fma_f16 v181, 0x31e1, v79, v89
	v_mul_f16_e64 v182, 0x3b76, v31
	v_add_f16_e32 v102, v0, v102
	v_fma_f16 v101, v56, 0xb8d2, -v101
	v_add_f16_e32 v84, v86, v84
	v_fma_f16 v83, v54, 0xb8d2, -v83
	v_add_f16_e32 v41, v0, v41
	v_add_f16_e32 v21, v5, v21
	v_mul_f16_e32 v91, 0x3bb2, v52
	v_add_f16_e64 v179, v179, v208
	v_add_f16_e32 v64, v80, v64
	v_add_f16_e64 v75, v186, v75
	v_fma_f16 v80, 0xbbdd, v69, v177
	v_mul_f16_e64 v183, 0x3964, v57
	v_add_f16_e32 v71, v100, v71
	v_add_f16_e64 v72, v178, v72
	v_add_f16_e64 v100, v5, v181
	v_fma_f16 v178, 0xb5c8, v77, v182
	v_mul_f16_e64 v181, 0xbacd, v28
	v_fma_f16 v184, 0x3bb2, v73, v180
	v_add_f16_e32 v101, v102, v101
	v_fma_f16 v102, v54, 0xbbdd, -v105
	v_add_f16_e32 v83, v84, v83
	v_fma_f16 v84, v66, 0xbbdd, -v87
	v_add_f16_e32 v40, v41, v40
	v_add_f16_e32 v19, v21, v19
	v_mul_f16_e32 v96, 0xb461, v47
	v_fma_f16 v188, 0xb461, v69, v91
	v_add_f16_e32 v80, v75, v80
	v_fma_f16 v185, 0x39e9, v70, v183
	v_add_f16_e64 v100, v100, v178
	v_fma_f16 v178, 0x3836, v76, v181
	v_mul_f16_e64 v186, 0x39e9, v45
	v_add_f16_e64 v75, v179, v184
	v_mul_f16_e64 v179, 0xb1e1, v44
	v_fmac_f16_e32 v92, 0xb964, v79
	v_add_f16_e32 v101, v101, v102
	v_fma_f16 v102, v66, 0xb461, -v103
	v_add_f16_e32 v83, v83, v84
	v_fma_f16 v84, v68, 0xbacd, -v88
	v_add_f16_e32 v39, v40, v39
	v_add_f16_e32 v18, v19, v18
	v_fma_f16 v187, 0xbbb2, v78, v96
	v_add_f16_e64 v55, v55, v188
	v_add_f16_e64 v100, v100, v178
	v_fma_f16 v178, 0xb964, v81, v186
	v_mul_f16_e64 v184, 0xb8d2, v46
	v_add_f16_e64 v80, v80, v185
	v_fma_f16 v185, 0xbbdd, v60, v179
	v_mul_f16_e64 v188, 0x35c8, v43
	v_mul_f16_e32 v93, 0x3b29, v57
	v_add_f16_e32 v92, v5, v92
	v_fmac_f16_e32 v90, 0xbbf7, v77
	v_add_f16_e32 v101, v101, v102
	v_fma_f16 v102, v68, 0x39e9, -v106
	v_add_f16_e32 v83, v83, v84
	v_fma_f16 v84, v69, 0xb461, -v91
	v_add_f16_e32 v38, v39, v38
	v_add_f16_e32 v16, v18, v16
	v_add_f16_e64 v53, v53, v187
	v_mul_f16_e64 v187, 0xbbb2, v63
	v_add_f16_e64 v100, v100, v178
	v_fma_f16 v178, 0x3a62, v82, v184
	v_mul_f16_e64 v189, 0x3722, v47
	v_add_f16_e64 v185, v0, v185
	v_fma_f16 v190, 0x3b76, v56, v188
	v_mul_f16_e64 v191, 0xb836, v42
	v_mul_f16_e32 v95, 0x35c8, v63
	v_add_f16_e32 v90, v92, v90
	v_fmac_f16_e32 v85, 0xba62, v76
	v_add_f16_e32 v92, v101, v102
	v_fma_f16 v101, v69, 0x3b76, -v107
	v_add_f16_e32 v83, v83, v84
	v_fma_f16 v84, v70, 0x3722, -v93
	v_add_f16_e32 v37, v38, v37
	v_add_f16_e32 v16, v16, v17
	v_fma_f16 v192, 0xb461, v67, v187
	v_add_f16_e64 v100, v100, v178
	v_fma_f16 v178, 0xbb29, v78, v189
	v_add_f16_e64 v185, v185, v190
	v_fma_f16 v190, 0xbacd, v54, v191
	v_mul_f16_e64 v193, 0x3964, v49
	v_add_f16_e32 v85, v90, v85
	v_add_f16_e32 v90, v92, v101
	v_fma_f16 v92, v70, 0x2de8, -v104
	v_add_f16_e32 v83, v83, v84
	v_fma_f16 v84, v67, 0x3b76, -v95
	v_mul_f16_e32 v44, 0xb5c8, v44
	v_add_f16_e32 v36, v37, v36
	v_add_f16_e32 v16, v16, v20
	v_add_f16_e64 v80, v80, v192
	v_mul_f16_e64 v192, 0xb461, v48
	v_add_f16_e64 v100, v100, v178
	v_add_f16_e64 v178, v185, v190
	v_fma_f16 v185, 0x39e9, v66, v193
	v_mul_f16_e64 v190, 0xba62, v51
	v_add_f16_e32 v90, v90, v92
	v_fma_f16 v92, v67, 0xbacd, -v108
	v_add_f16_e32 v83, v83, v84
	v_fma_f16 v84, v60, 0x3b76, -v44
	v_mul_f16_e32 v43, 0xb964, v43
	v_add_f16_e32 v35, v36, v35
	v_add_f16_e32 v16, v16, v24
	v_fma_f16 v194, 0x3bb2, v74, v192
	v_fmac_f16_e32 v89, 0xb1e1, v79
	v_mul_f16_e64 v195, 0x2de8, v50
	v_add_f16_e64 v178, v178, v185
	v_fma_f16 v185, 0xb8d2, v68, v190
	v_mul_f16_e64 v196, 0x3b29, v52
	v_add_f16_e32 v86, v90, v92
	v_add_f16_e32 v84, v0, v84
	v_fma_f16 v90, v56, 0x39e9, -v43
	v_mul_f16_e32 v42, 0xbb29, v42
	v_fmac_f16_e64 v173, 0xb836, v79
	v_fmac_f16_e64 v165, 0xba62, v79
	;; [unrolled: 1-line block ×4, first 2 shown]
	v_fmac_f16_e32 v114, 0xbb29, v79
	v_mul_f16_e32 v79, 0xb5c8, v79
	v_add_f16_e32 v34, v35, v34
	v_add_f16_e32 v16, v16, v26
	v_add_f16_e32 v89, v5, v89
	v_fmac_f16_e64 v182, 0x35c8, v77
	v_add_f16_e64 v100, v100, v194
	v_fma_f16 v194, 0xbbf7, v73, v195
	v_add_f16_e64 v178, v178, v185
	v_fma_f16 v185, 0x3722, v69, v196
	v_add_f16_e32 v41, v84, v90
	v_fma_f16 v84, v54, 0x3722, -v42
	v_mul_f16_e32 v21, 0xbbf7, v49
	v_fmac_f16_e32 v109, 0x3b29, v77
	v_fmac_f16_e64 v134, 0x3bb2, v77
	v_fmac_f16_e64 v147, 0x3836, v77
	;; [unrolled: 1-line block ×3, first 2 shown]
	v_fmac_f16_e32 v111, 0xba62, v77
	v_fmamk_f16 v87, v32, 0x3b76, v79
	v_mul_f16_e32 v77, 0xb964, v77
	v_fma_f16 v26, v32, 0x3b76, -v79
	v_add_f16_e32 v32, v33, v34
	v_add_f16_e32 v16, v23, v16
	v_add_f16_e64 v182, v89, v182
	v_add_f16_e64 v89, v100, v194
	;; [unrolled: 1-line block ×3, first 2 shown]
	v_fma_f16 v178, v60, 0xbbdd, -v179
	v_fma_f16 v167, v60, 0xbacd, -v167
	;; [unrolled: 1-line block ×5, first 2 shown]
	v_fmac_f16_e32 v44, 0x3b76, v60
	v_add_f16_e32 v40, v41, v84
	v_fma_f16 v19, v66, 0x2de8, -v21
	v_mul_f16_e32 v41, 0xbbb2, v51
	v_fmac_f16_e64 v181, 0xb836, v76
	v_add_f16_e64 v173, v5, v173
	v_fmac_f16_e64 v168, 0xbbf7, v76
	v_add_f16_e64 v165, v5, v165
	;; [unrolled: 2-line block ×4, first 2 shown]
	v_fmac_f16_e32 v126, 0x3bb2, v76
	v_add_f16_e32 v114, v5, v114
	v_fmac_f16_e32 v110, 0x31e1, v76
	v_add_f16_e32 v87, v5, v87
	v_mul_f16_e32 v76, 0xbb29, v76
	v_add_f16_e32 v5, v5, v26
	v_fma_f16 v23, v31, 0x39e9, -v77
	v_add_f16_e32 v30, v30, v32
	v_add_f16_e32 v14, v14, v16
	v_add_f16_e64 v178, v0, v178
	v_add_f16_e64 v167, v0, v167
	;; [unrolled: 1-line block ×4, first 2 shown]
	v_add_f16_e32 v120, v0, v120
	v_add_f16_e32 v0, v0, v44
	v_fmac_f16_e32 v43, 0x39e9, v56
	v_add_f16_e32 v18, v40, v19
	v_fma_f16 v19, v68, 0xb461, -v41
	v_mul_f16_e32 v17, 0xba62, v52
	v_fmac_f16_e64 v186, 0x3964, v81
	v_fmac_f16_e64 v169, 0x3a62, v81
	v_fmac_f16_e64 v160, 0xb836, v81
	v_fmac_f16_e64 v146, 0xbb29, v81
	v_fmac_f16_e64 v129, 0x35c8, v81
	v_fmac_f16_e32 v112, 0x3bb2, v81
	v_fmac_f16_e32 v94, 0xb1e1, v81
	v_mul_f16_e32 v81, 0xbbf7, v81
	v_add_f16_e32 v5, v5, v23
	v_fma_f16 v16, v28, 0x3722, -v76
	v_add_f16_e32 v23, v29, v30
	v_add_f16_e32 v12, v12, v14
	;; [unrolled: 1-line block ×3, first 2 shown]
	v_fmac_f16_e32 v42, 0x3722, v54
	v_add_f16_e32 v18, v18, v19
	v_fma_f16 v20, v69, 0xb8d2, -v17
	v_mul_f16_e32 v37, 0xb836, v57
	v_fmac_f16_e64 v184, 0xba62, v82
	v_fmac_f16_e64 v171, 0xb5c8, v82
	v_fmac_f16_e64 v163, 0x3bf7, v82
	v_fmac_f16_e64 v150, 0xb1e1, v82
	v_fmac_f16_e64 v132, 0xbb29, v82
	v_fmac_f16_e32 v115, 0x3964, v82
	v_fmac_f16_e32 v98, 0x3836, v82
	v_mul_f16_e32 v82, 0xbbb2, v82
	v_add_f16_e32 v5, v5, v16
	v_fma_f16 v14, v45, 0x2de8, -v81
	v_add_f16_e32 v16, v27, v23
	v_add_f16_e32 v11, v11, v12
	;; [unrolled: 1-line block ×3, first 2 shown]
	v_fmac_f16_e32 v21, 0x2de8, v66
	v_add_f16_e32 v18, v18, v20
	v_fma_f16 v20, v70, 0xbacd, -v37
	v_add_f16_e32 v5, v5, v14
	v_fma_f16 v12, v46, 0xb461, -v82
	v_add_f16_e32 v14, v25, v16
	v_add_f16_e32 v10, v10, v11
	v_fmac_f16_e64 v189, 0x3b29, v78
	v_fmac_f16_e64 v170, 0xb1e1, v78
	;; [unrolled: 1-line block ×5, first 2 shown]
	v_fmac_f16_e32 v113, 0xb5c8, v78
	v_fmac_f16_e32 v96, 0x3bb2, v78
	v_mul_f16_e32 v78, 0xba62, v78
	v_add_f16_e32 v0, v0, v21
	v_fmac_f16_e32 v41, 0xb461, v68
	v_add_f16_e32 v18, v18, v20
	v_mul_f16_e32 v20, 0xb1e1, v63
	v_add_f16_e32 v5, v5, v12
	v_add_f16_e32 v12, v22, v14
	;; [unrolled: 1-line block ×3, first 2 shown]
	v_mad_co_u64_u32 v[9:10], null, s16, v6, 0
	v_mul_f16_e32 v49, 0xb836, v74
	v_fma_f16 v11, v47, 0xb8d2, -v78
	v_add_f16_e32 v0, v0, v41
	v_fmac_f16_e32 v17, 0xb8d2, v69
	v_fma_f16 v26, v67, 0xbbdd, -v20
	v_mul_f16_e32 v19, 0xb1e1, v73
	v_add_f16_e32 v5, v5, v11
	v_fma_f16 v11, v48, 0xbacd, -v49
	v_add_f16_e32 v15, v15, v12
	v_add_f16_e32 v12, v0, v17
	v_mov_b32_e32 v0, v10
	v_add_f16_e32 v16, v18, v26
	v_fmac_f16_e32 v37, 0xbacd, v70
	v_or_b32_e32 v18, 16, v6
	v_add_f16_e32 v8, v8, v14
	v_add_f16_e32 v5, v5, v11
	v_fma_f16 v14, v50, 0xbbdd, -v19
	v_mad_co_u64_u32 v[10:11], null, s17, v6, v[0:1]
	v_add_f16_e32 v17, v12, v37
	v_mad_co_u64_u32 v[11:12], null, s16, v18, 0
	v_fmamk_f16 v88, v31, 0x39e9, v77
	v_add_f16_e32 v21, v5, v14
	v_or_b32_e32 v5, 32, v6
	v_lshlrev_b64_e32 v[1:2], 2, v[1:2]
	v_fmamk_f16 v38, v50, 0xbbdd, v19
	v_add_f16_e32 v87, v87, v88
	v_fmamk_f16 v88, v28, 0x3722, v76
	v_add_f16_e32 v19, v7, v8
	v_mov_b32_e32 v0, v12
	v_mad_co_u64_u32 v[7:8], null, s16, v5, 0
	v_fmac_f16_e32 v20, 0xbbdd, v67
	v_add_f16_e32 v87, v87, v88
	v_fmamk_f16 v88, v45, 0x2de8, v81
	v_add_f16_e32 v15, v13, v15
	v_mad_co_u64_u32 v[12:13], null, s17, v18, v[0:1]
	v_mov_b32_e32 v0, v8
	v_add_co_u32 v18, vcc_lo, v3, v1
	v_add_f16_e32 v17, v17, v20
	s_wait_alu 0xfffd
	v_add_co_ci_u32_e32 v20, vcc_lo, v4, v2, vcc_lo
	v_lshlrev_b64_e32 v[1:2], 2, v[9:10]
	v_or_b32_e32 v13, 48, v6
	v_add_f16_e32 v87, v87, v88
	v_fmamk_f16 v88, v46, 0xb461, v82
	v_add_f16_e32 v85, v85, v94
	v_pack_b32_f16 v19, v15, v19
	v_mad_co_u64_u32 v[9:10], null, s16, v13, 0
	v_mad_co_u64_u32 v[3:4], null, s17, v5, v[0:1]
	v_add_f16_e32 v87, v87, v88
	v_fmamk_f16 v88, v47, 0xb8d2, v78
	v_lshlrev_b64_e32 v[4:5], 2, v[11:12]
	v_or_b32_e32 v15, 64, v6
	v_mul_f16_e32 v99, 0x3722, v48
	v_add_f16_e32 v85, v85, v98
	v_add_co_u32 v0, vcc_lo, v18, v1
	v_add_f16_e32 v87, v87, v88
	v_fmamk_f16 v51, v48, 0xbacd, v49
	s_wait_alu 0xfffd
	v_add_co_ci_u32_e32 v1, vcc_lo, v20, v2, vcc_lo
	v_mad_co_u64_u32 v[11:12], null, s16, v15, 0
	v_mul_f16_e32 v97, 0x3b76, v50
	v_fma_f16 v198, 0xbb29, v74, v99
	v_add_f16_e32 v85, v85, v96
	v_fmac_f16_e32 v99, 0x3b29, v74
	v_add_co_u32 v2, vcc_lo, v18, v4
	v_mov_b32_e32 v4, v10
	v_mov_b32_e32 v8, v3
	v_fma_f16 v119, v56, 0xbbdd, -v119
	v_add_f16_e32 v39, v87, v51
	v_fma_f16 v209, 0xb5c8, v73, v97
	v_mul_f16_e64 v194, 0xbbb2, v57
	v_fma_f16 v136, v56, 0xbacd, -v136
	v_add_f16_e32 v85, v85, v99
	v_fmac_f16_e32 v97, 0x35c8, v73
	s_wait_alu 0xfffd
	v_add_co_ci_u32_e32 v3, vcc_lo, v20, v5, vcc_lo
	v_mad_co_u64_u32 v[4:5], null, s17, v13, v[4:5]
	v_mov_b32_e32 v5, v12
	v_or_b32_e32 v23, 0x50, v6
	v_lshlrev_b64_e32 v[7:8], 2, v[7:8]
	v_add_f16_e32 v111, v114, v111
	v_add_f16_e64 v131, v131, v128
	v_add_f16_e32 v120, v120, v119
	v_fma_f16 v123, v54, 0xb461, -v123
	v_add_f16_e32 v24, v39, v38
	v_add_f16_e64 v179, v182, v181
	v_fma_f16 v181, 0xb461, v70, v194
	v_mul_f16_e64 v182, 0x3bf7, v63
	v_fma_f16 v185, v56, 0x3b76, -v188
	v_add_f16_e64 v149, v149, v147
	v_add_f16_e64 v138, v138, v136
	v_fma_f16 v141, v54, 0x39e9, -v141
	v_add_f16_e32 v85, v85, v97
	v_mad_co_u64_u32 v[13:14], null, s16, v23, 0
	v_add_f16_e32 v110, v111, v110
	v_add_co_u32 v7, vcc_lo, v18, v7
	v_mov_b32_e32 v10, v4
	v_add_f16_e64 v126, v131, v126
	v_add_f16_e32 v120, v120, v123
	v_fma_f16 v121, v66, 0x3b76, -v121
	v_pack_b32_f16 v22, v16, v24
	v_add_f16_e64 v100, v100, v181
	v_fma_f16 v181, 0x2de8, v67, v182
	v_add_f16_e64 v178, v178, v185
	v_fma_f16 v185, v54, 0xbacd, -v191
	v_add_f16_e64 v144, v149, v144
	v_add_f16_e64 v138, v138, v141
	v_fma_f16 v137, v66, 0x3722, -v137
	s_wait_alu 0xfffd
	v_add_co_ci_u32_e32 v8, vcc_lo, v20, v8, vcc_lo
	v_pack_b32_f16 v12, v83, v85
	v_add_f16_e32 v110, v110, v112
	s_clause 0x2
	global_store_b32 v[0:1], v19, off
	global_store_b32 v[2:3], v22, off
	;; [unrolled: 1-line block ×3, first 2 shown]
	v_lshlrev_b64_e32 v[1:2], 2, v[9:10]
	v_add_f16_e64 v126, v126, v129
	v_add_f16_e32 v120, v120, v121
	v_fma_f16 v121, v68, 0x3722, -v124
	v_mov_b32_e32 v0, v14
	v_add_f16_e64 v100, v100, v181
	v_add_f16_e64 v178, v178, v185
	v_fma_f16 v181, v66, 0x39e9, -v193
	v_add_f16_e64 v144, v144, v146
	v_add_f16_e64 v137, v138, v137
	v_fma_f16 v138, v68, 0xbbdd, -v142
	v_mad_co_u64_u32 v[15:16], null, s17, v15, v[5:6]
	v_or_b32_e32 v16, 0x60, v6
	v_add_f16_e32 v105, v110, v115
	v_add_f16_e64 v126, v126, v132
	v_add_f16_e32 v114, v120, v121
	v_fma_f16 v120, v69, 0xbacd, -v125
	v_mad_co_u64_u32 v[3:4], null, s17, v23, v[0:1]
	v_add_f16_e64 v178, v178, v181
	v_fma_f16 v181, v68, 0xb8d2, -v190
	v_add_f16_e64 v144, v144, v150
	v_add_f16_e64 v137, v137, v138
	v_fma_f16 v138, v69, 0x2de8, -v143
	v_mad_co_u64_u32 v[4:5], null, s16, v16, 0
	v_add_f16_e32 v103, v105, v113
	v_fmac_f16_e32 v116, 0xbbf7, v74
	v_fma_f16 v140, v56, 0xb461, -v140
	v_add_f16_e64 v123, v126, v130
	v_fmac_f16_e64 v133, 0x3a62, v74
	v_add_f16_e32 v111, v114, v120
	v_fma_f16 v114, v70, 0xb8d2, -v122
	v_mov_b32_e32 v12, v15
	v_or_b32_e32 v19, 0x70, v6
	v_add_f16_e64 v173, v173, v109
	v_add_f16_e64 v178, v178, v181
	v_fma_f16 v181, v69, 0x3722, -v196
	v_add_f16_e64 v141, v144, v148
	v_fmac_f16_e64 v151, 0xb5c8, v74
	v_add_f16_e64 v131, v137, v138
	v_fma_f16 v137, v70, 0x3b76, -v139
	v_mov_b32_e32 v14, v3
	v_add_f16_e32 v103, v103, v116
	v_fmac_f16_e32 v117, 0xb836, v73
	v_add_co_u32 v0, vcc_lo, v18, v1
	v_add_f16_e64 v165, v165, v134
	v_add_f16_e64 v155, v155, v140
	v_fma_f16 v156, v54, 0x3b76, -v156
	v_add_f16_e64 v123, v123, v133
	v_fmac_f16_e64 v135, 0x3964, v73
	v_add_f16_e32 v111, v111, v114
	v_fma_f16 v112, v67, 0x39e9, -v127
	v_lshlrev_b64_e32 v[7:8], 2, v[11:12]
	v_mad_co_u64_u32 v[9:10], null, s16, v19, 0
	v_add_f16_e64 v168, v173, v168
	v_add_f16_e64 v173, v178, v181
	v_fma_f16 v178, v70, 0xb461, -v194
	v_fma_f16 v118, v56, 0x3722, -v118
	v_add_f16_e64 v141, v141, v151
	v_fmac_f16_e64 v152, 0xba62, v73
	v_add_f16_e64 v129, v131, v137
	v_fma_f16 v131, v67, 0xb8d2, -v145
	s_wait_alu 0xfffd
	v_add_co_ci_u32_e32 v1, vcc_lo, v20, v2, vcc_lo
	v_mov_b32_e32 v2, v5
	v_lshlrev_b64_e32 v[11:12], 2, v[13:14]
	v_add_f16_e32 v102, v103, v117
	v_add_f16_e64 v159, v165, v159
	v_add_f16_e64 v155, v155, v156
	v_fma_f16 v153, v66, 0xbacd, -v153
	v_add_f16_e64 v121, v123, v135
	v_add_f16_e32 v110, v111, v112
	v_add_f16_e64 v168, v168, v169
	v_add_f16_e64 v169, v173, v178
	v_fma_f16 v173, v67, 0x2de8, -v182
	v_add_f16_e64 v167, v167, v118
	v_fma_f16 v174, v54, 0x2de8, -v174
	v_add_f16_e64 v128, v141, v152
	v_add_f16_e64 v119, v129, v131
	v_add_co_u32 v7, vcc_lo, v18, v7
	v_mad_co_u64_u32 v[2:3], null, s17, v16, v[2:3]
	s_wait_alu 0xfffd
	v_add_co_ci_u32_e32 v8, vcc_lo, v20, v8, vcc_lo
	v_mov_b32_e32 v3, v10
	v_pack_b32_f16 v15, v86, v102
	v_add_co_u32 v10, vcc_lo, v18, v11
	v_add_f16_e64 v159, v159, v160
	v_add_f16_e64 v153, v155, v153
	v_fma_f16 v155, v68, 0x2de8, -v157
	v_pack_b32_f16 v14, v110, v121
	v_add_f16_e64 v118, v169, v173
	v_add_f16_e64 v167, v167, v174
	v_fma_f16 v169, v66, 0xb8d2, -v175
	s_wait_alu 0xfffd
	v_add_co_ci_u32_e32 v11, vcc_lo, v20, v12, vcc_lo
	v_pack_b32_f16 v16, v119, v128
	v_mad_co_u64_u32 v[12:13], null, s17, v19, v[3:4]
	v_mov_b32_e32 v5, v2
	s_clause 0x2
	global_store_b32 v[0:1], v15, off
	global_store_b32 v[7:8], v14, off
	;; [unrolled: 1-line block ×3, first 2 shown]
	v_or_b32_e32 v11, 0x80, v6
	v_or_b32_e32 v13, 0x90, v6
	v_add_f16_e64 v159, v159, v163
	v_add_f16_e64 v153, v153, v155
	v_fma_f16 v155, v69, 0x39e9, -v158
	v_add_f16_e64 v167, v167, v169
	v_fma_f16 v169, v68, 0x3b76, -v176
	v_lshlrev_b64_e32 v[0:1], 2, v[4:5]
	v_mad_co_u64_u32 v[2:3], null, s16, v11, 0
	v_mad_co_u64_u32 v[4:5], null, s16, v13, 0
	v_add_f16_e64 v156, v159, v161
	v_fmac_f16_e64 v164, 0xb1e1, v74
	v_add_f16_e64 v149, v153, v155
	v_fma_f16 v153, v70, 0xbbdd, -v154
	v_add_f16_e64 v168, v168, v171
	v_add_f16_e64 v167, v167, v169
	v_fma_f16 v169, v69, 0xbbdd, -v177
	v_mov_b32_e32 v10, v12
	v_or_b32_e32 v15, 0xa0, v6
	v_add_f16_e64 v156, v156, v164
	v_fmac_f16_e64 v166, 0x3b29, v73
	v_add_f16_e64 v146, v149, v153
	v_fma_f16 v149, v67, 0x3722, -v162
	v_add_f16_e64 v168, v168, v170
	v_fmac_f16_e64 v172, 0x3964, v74
	v_add_f16_e64 v165, v167, v169
	v_fma_f16 v167, v70, 0x39e9, -v183
	v_mad_co_u64_u32 v[11:12], null, s17, v11, v[3:4]
	v_add_f16_e64 v179, v179, v186
	v_lshlrev_b64_e32 v[7:8], 2, v[9:10]
	v_mad_co_u64_u32 v[9:10], null, s16, v15, 0
	v_add_f16_e64 v147, v156, v166
	v_add_f16_e64 v136, v146, v149
	v_mad_co_u64_u32 v[12:13], null, s17, v13, v[5:6]
	v_add_f16_e64 v168, v168, v172
	v_fmac_f16_e64 v180, 0xbbb2, v73
	v_add_f16_e64 v160, v165, v167
	v_fma_f16 v165, v67, 0xb461, -v187
	v_add_co_u32 v0, vcc_lo, v18, v0
	v_add_f16_e64 v179, v179, v184
	s_wait_alu 0xfffd
	v_add_co_ci_u32_e32 v1, vcc_lo, v20, v1, vcc_lo
	v_pack_b32_f16 v14, v136, v147
	v_mov_b32_e32 v3, v11
	v_add_f16_e64 v134, v168, v180
	v_add_f16_e64 v140, v160, v165
	v_mad_co_u64_u32 v[10:11], null, s17, v15, v[10:11]
	v_mov_b32_e32 v5, v12
	v_or_b32_e32 v11, 0xb0, v6
	v_add_f16_e64 v179, v179, v189
	v_fmac_f16_e64 v192, 0xbbb2, v74
	v_add_co_u32 v7, vcc_lo, v18, v7
	global_store_b32 v[0:1], v14, off
	v_lshlrev_b64_e32 v[0:1], 2, v[2:3]
	s_wait_alu 0xfffd
	v_add_co_ci_u32_e32 v8, vcc_lo, v20, v8, vcc_lo
	v_pack_b32_f16 v13, v140, v134
	v_lshlrev_b64_e32 v[2:3], 2, v[4:5]
	v_mad_co_u64_u32 v[4:5], null, s16, v11, 0
	v_add_f16_e64 v179, v179, v192
	v_fmac_f16_e64 v195, 0x3bf7, v73
	global_store_b32 v[7:8], v13, off
	v_add_co_u32 v0, vcc_lo, v18, v0
	v_lshlrev_b64_e32 v[7:8], 2, v[9:10]
	s_wait_alu 0xfffd
	v_add_co_ci_u32_e32 v1, vcc_lo, v20, v1, vcc_lo
	v_add_f16_e64 v109, v179, v195
	v_add_co_u32 v2, vcc_lo, v18, v2
	s_wait_alu 0xfffd
	v_add_co_ci_u32_e32 v3, vcc_lo, v20, v3, vcc_lo
	v_mad_co_u64_u32 v[9:10], null, s17, v11, v[5:6]
	v_add_co_u32 v7, vcc_lo, v18, v7
	v_pack_b32_f16 v12, v118, v109
	v_pack_b32_f16 v10, v100, v89
	s_wait_alu 0xfffd
	v_add_co_ci_u32_e32 v8, vcc_lo, v20, v8, vcc_lo
	v_pack_b32_f16 v11, v80, v75
	global_store_b32 v[0:1], v12, off
	v_mov_b32_e32 v5, v9
	global_store_b32 v[2:3], v10, off
	v_or_b32_e32 v9, 0xc0, v6
	global_store_b32 v[7:8], v11, off
	v_or_b32_e32 v11, 0xd0, v6
	v_or_b32_e32 v13, 0xe0, v6
	v_lshlrev_b64_e32 v[0:1], 2, v[4:5]
	v_mad_co_u64_u32 v[2:3], null, s16, v9, 0
	s_delay_alu instid0(VALU_DEP_4) | instskip(NEXT) | instid1(VALU_DEP_4)
	v_mad_co_u64_u32 v[4:5], null, s16, v11, 0
	v_mad_co_u64_u32 v[7:8], null, s16, v13, 0
	v_or_b32_e32 v15, 0xf0, v6
	v_add_co_u32 v0, vcc_lo, v18, v0
	s_wait_alu 0xfffd
	v_add_co_ci_u32_e32 v1, vcc_lo, v20, v1, vcc_lo
	v_mad_co_u64_u32 v[9:10], null, s17, v9, v[3:4]
	v_mad_co_u64_u32 v[10:11], null, s17, v11, v[5:6]
	v_mov_b32_e32 v5, v8
	v_mad_co_u64_u32 v[11:12], null, s16, v15, 0
	v_pack_b32_f16 v14, v72, v71
	v_mov_b32_e32 v3, v9
	s_delay_alu instid0(VALU_DEP_4)
	v_mad_co_u64_u32 v[8:9], null, s17, v13, v[5:6]
	v_or_b32_e32 v13, 0x100, v6
	global_store_b32 v[0:1], v14, off
	v_lshlrev_b64_e32 v[0:1], 2, v[2:3]
	v_dual_mov_b32 v5, v10 :: v_dual_mov_b32 v2, v12
	v_mad_co_u64_u32 v[9:10], null, s16, v13, 0
	v_fma_f16 v201, 0x3722, v70, v93
	s_delay_alu instid0(VALU_DEP_3) | instskip(NEXT) | instid1(VALU_DEP_4)
	v_lshlrev_b64_e32 v[4:5], 2, v[4:5]
	v_mad_co_u64_u32 v[2:3], null, s17, v15, v[2:3]
	v_add_co_u32 v0, vcc_lo, v18, v0
	v_mov_b32_e32 v3, v10
	s_wait_alu 0xfffd
	v_add_co_ci_u32_e32 v1, vcc_lo, v20, v1, vcc_lo
	v_lshlrev_b64_e32 v[6:7], 2, v[7:8]
	v_mov_b32_e32 v12, v2
	v_mad_co_u64_u32 v[13:14], null, s17, v13, v[3:4]
	v_add_co_u32 v2, vcc_lo, v18, v4
	v_fma_f16 v210, 0x3b76, v67, v95
	v_add_f16_e64 v53, v53, v198
	v_add_f16_e64 v55, v55, v201
	s_wait_alu 0xfffd
	v_add_co_ci_u32_e32 v3, vcc_lo, v20, v5, vcc_lo
	v_mov_b32_e32 v10, v13
	v_lshlrev_b64_e32 v[4:5], 2, v[11:12]
	v_add_co_u32 v6, vcc_lo, v18, v6
	v_add_f16_e64 v53, v53, v209
	s_delay_alu instid0(VALU_DEP_4)
	v_lshlrev_b64_e32 v[8:9], 2, v[9:10]
	v_add_f16_e64 v55, v55, v210
	s_wait_alu 0xfffd
	v_add_co_ci_u32_e32 v7, vcc_lo, v20, v7, vcc_lo
	v_add_co_u32 v4, vcc_lo, v18, v4
	v_pack_b32_f16 v15, v65, v64
	v_pack_b32_f16 v14, v62, v61
	s_wait_alu 0xfffd
	v_add_co_ci_u32_e32 v5, vcc_lo, v20, v5, vcc_lo
	v_pack_b32_f16 v11, v59, v58
	v_add_co_u32 v8, vcc_lo, v18, v8
	v_pack_b32_f16 v10, v55, v53
	s_wait_alu 0xfffd
	v_add_co_ci_u32_e32 v9, vcc_lo, v20, v9, vcc_lo
	v_pack_b32_f16 v12, v17, v21
	s_clause 0x4
	global_store_b32 v[0:1], v15, off
	global_store_b32 v[2:3], v14, off
	;; [unrolled: 1-line block ×5, first 2 shown]
.LBB0_18:
	s_nop 0
	s_sendmsg sendmsg(MSG_DEALLOC_VGPRS)
	s_endpgm
	.section	.rodata,"a",@progbits
	.p2align	6, 0x0
	.amdhsa_kernel fft_rtc_fwd_len272_factors_16_17_wgs_119_tpt_17_halfLds_half_op_CI_CI_sbrr_dirReg
		.amdhsa_group_segment_fixed_size 0
		.amdhsa_private_segment_fixed_size 0
		.amdhsa_kernarg_size 104
		.amdhsa_user_sgpr_count 2
		.amdhsa_user_sgpr_dispatch_ptr 0
		.amdhsa_user_sgpr_queue_ptr 0
		.amdhsa_user_sgpr_kernarg_segment_ptr 1
		.amdhsa_user_sgpr_dispatch_id 0
		.amdhsa_user_sgpr_private_segment_size 0
		.amdhsa_wavefront_size32 1
		.amdhsa_uses_dynamic_stack 0
		.amdhsa_enable_private_segment 0
		.amdhsa_system_sgpr_workgroup_id_x 1
		.amdhsa_system_sgpr_workgroup_id_y 0
		.amdhsa_system_sgpr_workgroup_id_z 0
		.amdhsa_system_sgpr_workgroup_info 0
		.amdhsa_system_vgpr_workitem_id 0
		.amdhsa_next_free_vgpr 213
		.amdhsa_next_free_sgpr 43
		.amdhsa_reserve_vcc 1
		.amdhsa_float_round_mode_32 0
		.amdhsa_float_round_mode_16_64 0
		.amdhsa_float_denorm_mode_32 3
		.amdhsa_float_denorm_mode_16_64 3
		.amdhsa_fp16_overflow 0
		.amdhsa_workgroup_processor_mode 1
		.amdhsa_memory_ordered 1
		.amdhsa_forward_progress 0
		.amdhsa_round_robin_scheduling 0
		.amdhsa_exception_fp_ieee_invalid_op 0
		.amdhsa_exception_fp_denorm_src 0
		.amdhsa_exception_fp_ieee_div_zero 0
		.amdhsa_exception_fp_ieee_overflow 0
		.amdhsa_exception_fp_ieee_underflow 0
		.amdhsa_exception_fp_ieee_inexact 0
		.amdhsa_exception_int_div_zero 0
	.end_amdhsa_kernel
	.text
.Lfunc_end0:
	.size	fft_rtc_fwd_len272_factors_16_17_wgs_119_tpt_17_halfLds_half_op_CI_CI_sbrr_dirReg, .Lfunc_end0-fft_rtc_fwd_len272_factors_16_17_wgs_119_tpt_17_halfLds_half_op_CI_CI_sbrr_dirReg
                                        ; -- End function
	.section	.AMDGPU.csdata,"",@progbits
; Kernel info:
; codeLenInByte = 12388
; NumSgprs: 45
; NumVgprs: 213
; ScratchSize: 0
; MemoryBound: 0
; FloatMode: 240
; IeeeMode: 1
; LDSByteSize: 0 bytes/workgroup (compile time only)
; SGPRBlocks: 5
; VGPRBlocks: 26
; NumSGPRsForWavesPerEU: 45
; NumVGPRsForWavesPerEU: 213
; Occupancy: 7
; WaveLimiterHint : 1
; COMPUTE_PGM_RSRC2:SCRATCH_EN: 0
; COMPUTE_PGM_RSRC2:USER_SGPR: 2
; COMPUTE_PGM_RSRC2:TRAP_HANDLER: 0
; COMPUTE_PGM_RSRC2:TGID_X_EN: 1
; COMPUTE_PGM_RSRC2:TGID_Y_EN: 0
; COMPUTE_PGM_RSRC2:TGID_Z_EN: 0
; COMPUTE_PGM_RSRC2:TIDIG_COMP_CNT: 0
	.text
	.p2alignl 7, 3214868480
	.fill 96, 4, 3214868480
	.type	__hip_cuid_bae28c894cb016a8,@object ; @__hip_cuid_bae28c894cb016a8
	.section	.bss,"aw",@nobits
	.globl	__hip_cuid_bae28c894cb016a8
__hip_cuid_bae28c894cb016a8:
	.byte	0                               ; 0x0
	.size	__hip_cuid_bae28c894cb016a8, 1

	.ident	"AMD clang version 19.0.0git (https://github.com/RadeonOpenCompute/llvm-project roc-6.4.0 25133 c7fe45cf4b819c5991fe208aaa96edf142730f1d)"
	.section	".note.GNU-stack","",@progbits
	.addrsig
	.addrsig_sym __hip_cuid_bae28c894cb016a8
	.amdgpu_metadata
---
amdhsa.kernels:
  - .args:
      - .actual_access:  read_only
        .address_space:  global
        .offset:         0
        .size:           8
        .value_kind:     global_buffer
      - .offset:         8
        .size:           8
        .value_kind:     by_value
      - .actual_access:  read_only
        .address_space:  global
        .offset:         16
        .size:           8
        .value_kind:     global_buffer
      - .actual_access:  read_only
        .address_space:  global
        .offset:         24
        .size:           8
        .value_kind:     global_buffer
      - .actual_access:  read_only
        .address_space:  global
        .offset:         32
        .size:           8
        .value_kind:     global_buffer
      - .offset:         40
        .size:           8
        .value_kind:     by_value
      - .actual_access:  read_only
        .address_space:  global
        .offset:         48
        .size:           8
        .value_kind:     global_buffer
      - .actual_access:  read_only
        .address_space:  global
        .offset:         56
        .size:           8
        .value_kind:     global_buffer
      - .offset:         64
        .size:           4
        .value_kind:     by_value
      - .actual_access:  read_only
        .address_space:  global
        .offset:         72
        .size:           8
        .value_kind:     global_buffer
      - .actual_access:  read_only
        .address_space:  global
        .offset:         80
        .size:           8
        .value_kind:     global_buffer
      - .actual_access:  read_only
        .address_space:  global
        .offset:         88
        .size:           8
        .value_kind:     global_buffer
      - .actual_access:  write_only
        .address_space:  global
        .offset:         96
        .size:           8
        .value_kind:     global_buffer
    .group_segment_fixed_size: 0
    .kernarg_segment_align: 8
    .kernarg_segment_size: 104
    .language:       OpenCL C
    .language_version:
      - 2
      - 0
    .max_flat_workgroup_size: 119
    .name:           fft_rtc_fwd_len272_factors_16_17_wgs_119_tpt_17_halfLds_half_op_CI_CI_sbrr_dirReg
    .private_segment_fixed_size: 0
    .sgpr_count:     45
    .sgpr_spill_count: 0
    .symbol:         fft_rtc_fwd_len272_factors_16_17_wgs_119_tpt_17_halfLds_half_op_CI_CI_sbrr_dirReg.kd
    .uniform_work_group_size: 1
    .uses_dynamic_stack: false
    .vgpr_count:     213
    .vgpr_spill_count: 0
    .wavefront_size: 32
    .workgroup_processor_mode: 1
amdhsa.target:   amdgcn-amd-amdhsa--gfx1201
amdhsa.version:
  - 1
  - 2
...

	.end_amdgpu_metadata
